;; amdgpu-corpus repo=ROCm/composable_kernel kind=compiled arch=gfx942 opt=O3
	.text
	.amdgcn_target "amdgcn-amd-amdhsa--gfx942"
	.amdhsa_code_object_version 6
	.section	.text._ZN2ckL12flush_icacheEv,"axG",@progbits,_ZN2ckL12flush_icacheEv,comdat
	.globl	_ZN2ckL12flush_icacheEv         ; -- Begin function _ZN2ckL12flush_icacheEv
	.p2align	8
	.type	_ZN2ckL12flush_icacheEv,@function
_ZN2ckL12flush_icacheEv:                ; @_ZN2ckL12flush_icacheEv
; %bb.0:
	;;#ASMSTART
	s_icache_inv 
	s_nop 0 
	s_nop 0 
	;; [unrolled: 1-line block ×16, first 2 shown]
	
	;;#ASMEND
	s_endpgm
	.section	.rodata,"a",@progbits
	.p2align	6, 0x0
	.amdhsa_kernel _ZN2ckL12flush_icacheEv
		.amdhsa_group_segment_fixed_size 0
		.amdhsa_private_segment_fixed_size 0
		.amdhsa_kernarg_size 0
		.amdhsa_user_sgpr_count 0
		.amdhsa_user_sgpr_dispatch_ptr 0
		.amdhsa_user_sgpr_queue_ptr 0
		.amdhsa_user_sgpr_kernarg_segment_ptr 0
		.amdhsa_user_sgpr_dispatch_id 0
		.amdhsa_user_sgpr_kernarg_preload_length 0
		.amdhsa_user_sgpr_kernarg_preload_offset 0
		.amdhsa_user_sgpr_private_segment_size 0
		.amdhsa_uses_dynamic_stack 0
		.amdhsa_enable_private_segment 0
		.amdhsa_system_sgpr_workgroup_id_x 1
		.amdhsa_system_sgpr_workgroup_id_y 0
		.amdhsa_system_sgpr_workgroup_id_z 0
		.amdhsa_system_sgpr_workgroup_info 0
		.amdhsa_system_vgpr_workitem_id 0
		.amdhsa_next_free_vgpr 1
		.amdhsa_next_free_sgpr 0
		.amdhsa_accum_offset 4
		.amdhsa_reserve_vcc 0
		.amdhsa_float_round_mode_32 0
		.amdhsa_float_round_mode_16_64 0
		.amdhsa_float_denorm_mode_32 3
		.amdhsa_float_denorm_mode_16_64 3
		.amdhsa_dx10_clamp 1
		.amdhsa_ieee_mode 1
		.amdhsa_fp16_overflow 0
		.amdhsa_tg_split 0
		.amdhsa_exception_fp_ieee_invalid_op 0
		.amdhsa_exception_fp_denorm_src 0
		.amdhsa_exception_fp_ieee_div_zero 0
		.amdhsa_exception_fp_ieee_overflow 0
		.amdhsa_exception_fp_ieee_underflow 0
		.amdhsa_exception_fp_ieee_inexact 0
		.amdhsa_exception_int_div_zero 0
	.end_amdhsa_kernel
	.section	.text._ZN2ckL12flush_icacheEv,"axG",@progbits,_ZN2ckL12flush_icacheEv,comdat
.Lfunc_end0:
	.size	_ZN2ckL12flush_icacheEv, .Lfunc_end0-_ZN2ckL12flush_icacheEv
                                        ; -- End function
	.section	.AMDGPU.csdata,"",@progbits
; Kernel info:
; codeLenInByte = 140
; NumSgprs: 6
; NumVgprs: 0
; NumAgprs: 0
; TotalNumVgprs: 0
; ScratchSize: 0
; MemoryBound: 0
; FloatMode: 240
; IeeeMode: 1
; LDSByteSize: 0 bytes/workgroup (compile time only)
; SGPRBlocks: 0
; VGPRBlocks: 0
; NumSGPRsForWavesPerEU: 6
; NumVGPRsForWavesPerEU: 1
; AccumOffset: 4
; Occupancy: 8
; WaveLimiterHint : 0
; COMPUTE_PGM_RSRC2:SCRATCH_EN: 0
; COMPUTE_PGM_RSRC2:USER_SGPR: 0
; COMPUTE_PGM_RSRC2:TRAP_HANDLER: 0
; COMPUTE_PGM_RSRC2:TGID_X_EN: 1
; COMPUTE_PGM_RSRC2:TGID_Y_EN: 0
; COMPUTE_PGM_RSRC2:TGID_Z_EN: 0
; COMPUTE_PGM_RSRC2:TIDIG_COMP_CNT: 0
; COMPUTE_PGM_RSRC3_GFX90A:ACCUM_OFFSET: 0
; COMPUTE_PGM_RSRC3_GFX90A:TG_SPLIT: 0
	.text
	.p2align	2                               ; -- Begin function _ZNK2ck6detail15static_for_implINS_8SequenceIJLi1ELi2ELi3ELi4ELi5ELi6ELi7ELi8ELi9ELi10ELi11ELi12ELi13ELi14ELi15EEEEEclIZNKS_80BlockwiseGemmDl_A_BK0_BM_BK1_B_BK0_BN_BK1_C_BM0_BM1_BN0_BN1_pipeline_BM0_2_BN0_2ILi256EaaiKNS_16TensorDescriptorINS_5TupleIJNS_5EmbedINS8_IJNS_17integral_constantIiLi16EEENSA_IiLi128EEENSA_IiLi4EEEEEENS8_IJNSA_IiLi512EEESD_NSA_IiLi1EEEEEELb0EEEEEENS8_IJNS2_IJLi0EEEEEEENS8_IJNS2_IJLi1ELi2ELi3EEEEEEESM_NSA_IlLl8192EEEEESQ_Li4ELi4ELi1ENS2_IJLi8ELi2EEEESR_Li4ELi4ELb0EE3RunINS7_INS8_IJNS_7UnMergeINS8_IJNSA_IiLi2EEESD_SV_SD_EEELb0EEEEEESL_NS8_IJNS2_IJLi1ELi2ELi3ELi4EEEEEEESZ_NSA_IlLl64EEEEENS_13DynamicBufferILNS_16AddressSpaceEnumE2EaSO_Lb1ELNS_22AmdBufferCoherenceEnumE0EiEES16_NS_12StaticBufferILS14_4EiLi64ELb1EEEEEvRKT_RKT0_RKT1_RT2_EUlS19_E_EEvS19_
	.type	_ZNK2ck6detail15static_for_implINS_8SequenceIJLi1ELi2ELi3ELi4ELi5ELi6ELi7ELi8ELi9ELi10ELi11ELi12ELi13ELi14ELi15EEEEEclIZNKS_80BlockwiseGemmDl_A_BK0_BM_BK1_B_BK0_BN_BK1_C_BM0_BM1_BN0_BN1_pipeline_BM0_2_BN0_2ILi256EaaiKNS_16TensorDescriptorINS_5TupleIJNS_5EmbedINS8_IJNS_17integral_constantIiLi16EEENSA_IiLi128EEENSA_IiLi4EEEEEENS8_IJNSA_IiLi512EEESD_NSA_IiLi1EEEEEELb0EEEEEENS8_IJNS2_IJLi0EEEEEEENS8_IJNS2_IJLi1ELi2ELi3EEEEEEESM_NSA_IlLl8192EEEEESQ_Li4ELi4ELi1ENS2_IJLi8ELi2EEEESR_Li4ELi4ELb0EE3RunINS7_INS8_IJNS_7UnMergeINS8_IJNSA_IiLi2EEESD_SV_SD_EEELb0EEEEEESL_NS8_IJNS2_IJLi1ELi2ELi3ELi4EEEEEEESZ_NSA_IlLl64EEEEENS_13DynamicBufferILNS_16AddressSpaceEnumE2EaSO_Lb1ELNS_22AmdBufferCoherenceEnumE0EiEES16_NS_12StaticBufferILS14_4EiLi64ELb1EEEEEvRKT_RKT0_RKT1_RT2_EUlS19_E_EEvS19_,@function
_ZNK2ck6detail15static_for_implINS_8SequenceIJLi1ELi2ELi3ELi4ELi5ELi6ELi7ELi8ELi9ELi10ELi11ELi12ELi13ELi14ELi15EEEEEclIZNKS_80BlockwiseGemmDl_A_BK0_BM_BK1_B_BK0_BN_BK1_C_BM0_BM1_BN0_BN1_pipeline_BM0_2_BN0_2ILi256EaaiKNS_16TensorDescriptorINS_5TupleIJNS_5EmbedINS8_IJNS_17integral_constantIiLi16EEENSA_IiLi128EEENSA_IiLi4EEEEEENS8_IJNSA_IiLi512EEESD_NSA_IiLi1EEEEEELb0EEEEEENS8_IJNS2_IJLi0EEEEEEENS8_IJNS2_IJLi1ELi2ELi3EEEEEEESM_NSA_IlLl8192EEEEESQ_Li4ELi4ELi1ENS2_IJLi8ELi2EEEESR_Li4ELi4ELb0EE3RunINS7_INS8_IJNS_7UnMergeINS8_IJNSA_IiLi2EEESD_SV_SD_EEELb0EEEEEESL_NS8_IJNS2_IJLi1ELi2ELi3ELi4EEEEEEESZ_NSA_IlLl64EEEEENS_13DynamicBufferILNS_16AddressSpaceEnumE2EaSO_Lb1ELNS_22AmdBufferCoherenceEnumE0EiEES16_NS_12StaticBufferILS14_4EiLi64ELb1EEEEEvRKT_RKT0_RKT1_RT2_EUlS19_E_EEvS19_: ; @_ZNK2ck6detail15static_for_implINS_8SequenceIJLi1ELi2ELi3ELi4ELi5ELi6ELi7ELi8ELi9ELi10ELi11ELi12ELi13ELi14ELi15EEEEEclIZNKS_80BlockwiseGemmDl_A_BK0_BM_BK1_B_BK0_BN_BK1_C_BM0_BM1_BN0_BN1_pipeline_BM0_2_BN0_2ILi256EaaiKNS_16TensorDescriptorINS_5TupleIJNS_5EmbedINS8_IJNS_17integral_constantIiLi16EEENSA_IiLi128EEENSA_IiLi4EEEEEENS8_IJNSA_IiLi512EEESD_NSA_IiLi1EEEEEELb0EEEEEENS8_IJNS2_IJLi0EEEEEEENS8_IJNS2_IJLi1ELi2ELi3EEEEEEESM_NSA_IlLl8192EEEEESQ_Li4ELi4ELi1ENS2_IJLi8ELi2EEEESR_Li4ELi4ELb0EE3RunINS7_INS8_IJNS_7UnMergeINS8_IJNSA_IiLi2EEESD_SV_SD_EEELb0EEEEEESL_NS8_IJNS2_IJLi1ELi2ELi3ELi4EEEEEEESZ_NSA_IlLl64EEEEENS_13DynamicBufferILNS_16AddressSpaceEnumE2EaSO_Lb1ELNS_22AmdBufferCoherenceEnumE0EiEES16_NS_12StaticBufferILS14_4EiLi64ELb1EEEEEvRKT_RKT0_RKT1_RT2_EUlS19_E_EEvS19_
; %bb.0:
	s_waitcnt vmcnt(0) expcnt(0) lgkmcnt(0)
	flat_load_dword v12, v[0:1] offset:16
	flat_load_dwordx2 v[14:15], v[2:3]
	s_movk_i32 s0, 0x1000
	s_waitcnt vmcnt(0) lgkmcnt(0)
	v_ashrrev_i32_e32 v13, 31, v12
	v_lshl_add_u64 v[16:17], v[14:15], 0, v[12:13]
	flat_load_dwordx4 v[12:15], v[16:17] offset:512
	flat_load_dword v20, v[4:5] offset:16
	s_waitcnt vmcnt(0) lgkmcnt(0)
	flat_store_dwordx4 v[4:5], v[12:15]
	flat_load_dword v21, v[6:7]
	s_nop 0
	flat_load_dwordx4 v[12:15], v[8:9] offset:128
	flat_load_dwordx4 v[16:19], v[8:9] offset:160
	s_waitcnt vmcnt(0) lgkmcnt(0)
	v_dot4c_i32_i8_e32 v12, v20, v21
	s_nop 2
	flat_store_dword v[8:9], v12 offset:128
	flat_load_dword v12, v[4:5] offset:16
	s_nop 0
	flat_load_dword v20, v[6:7] offset:4
	s_waitcnt vmcnt(0) lgkmcnt(0)
	v_dot4c_i32_i8_e32 v13, v12, v20
	s_nop 2
	flat_store_dword v[8:9], v13 offset:132
	flat_load_dword v12, v[4:5] offset:16
	s_nop 0
	flat_load_dword v13, v[6:7] offset:8
	s_waitcnt vmcnt(0) lgkmcnt(0)
	v_dot4c_i32_i8_e32 v14, v12, v13
	s_nop 2
	flat_store_dword v[8:9], v14 offset:136
	flat_load_dword v12, v[4:5] offset:16
	flat_load_dword v13, v[6:7] offset:12
	s_waitcnt vmcnt(0) lgkmcnt(0)
	v_dot4c_i32_i8_e32 v15, v12, v13
	s_nop 2
	flat_store_dword v[8:9], v15 offset:140
	flat_load_dword v12, v[4:5] offset:20
	flat_load_dword v13, v[6:7]
	s_waitcnt vmcnt(0) lgkmcnt(0)
	v_dot4c_i32_i8_e32 v16, v12, v13
	s_nop 2
	flat_store_dword v[8:9], v16 offset:160
	flat_load_dword v12, v[4:5] offset:20
	flat_load_dword v13, v[6:7] offset:4
	s_waitcnt vmcnt(0) lgkmcnt(0)
	v_dot4c_i32_i8_e32 v17, v12, v13
	s_nop 2
	flat_store_dword v[8:9], v17 offset:164
	flat_load_dword v12, v[4:5] offset:20
	flat_load_dword v13, v[6:7] offset:8
	;; [unrolled: 6-line block ×3, first 2 shown]
	s_waitcnt vmcnt(0) lgkmcnt(0)
	v_dot4c_i32_i8_e32 v19, v12, v13
	s_nop 2
	flat_store_dword v[8:9], v19 offset:172
	flat_load_dword v20, v[4:5] offset:24
	flat_load_dword v21, v[6:7]
	flat_load_dwordx4 v[12:15], v[8:9] offset:192
	s_nop 0
	flat_load_dwordx4 v[16:19], v[8:9] offset:224
	s_waitcnt vmcnt(0) lgkmcnt(0)
	v_dot4c_i32_i8_e32 v12, v20, v21
	s_nop 2
	flat_store_dword v[8:9], v12 offset:192
	flat_load_dword v12, v[4:5] offset:24
	s_nop 0
	flat_load_dword v20, v[6:7] offset:4
	s_waitcnt vmcnt(0) lgkmcnt(0)
	v_dot4c_i32_i8_e32 v13, v12, v20
	s_nop 2
	flat_store_dword v[8:9], v13 offset:196
	flat_load_dword v12, v[4:5] offset:24
	s_nop 0
	flat_load_dword v13, v[6:7] offset:8
	s_waitcnt vmcnt(0) lgkmcnt(0)
	v_dot4c_i32_i8_e32 v14, v12, v13
	s_nop 2
	flat_store_dword v[8:9], v14 offset:200
	flat_load_dword v12, v[4:5] offset:24
	flat_load_dword v13, v[6:7] offset:12
	s_waitcnt vmcnt(0) lgkmcnt(0)
	v_dot4c_i32_i8_e32 v15, v12, v13
	s_nop 2
	flat_store_dword v[8:9], v15 offset:204
	flat_load_dword v12, v[4:5] offset:28
	flat_load_dword v13, v[6:7]
	s_waitcnt vmcnt(0) lgkmcnt(0)
	v_dot4c_i32_i8_e32 v16, v12, v13
	s_nop 2
	flat_store_dword v[8:9], v16 offset:224
	flat_load_dword v12, v[4:5] offset:28
	flat_load_dword v13, v[6:7] offset:4
	s_waitcnt vmcnt(0) lgkmcnt(0)
	v_dot4c_i32_i8_e32 v17, v12, v13
	s_nop 2
	flat_store_dword v[8:9], v17 offset:228
	flat_load_dword v12, v[4:5] offset:28
	flat_load_dword v13, v[6:7] offset:8
	;; [unrolled: 6-line block ×3, first 2 shown]
	s_waitcnt vmcnt(0) lgkmcnt(0)
	v_dot4c_i32_i8_e32 v19, v12, v13
	s_nop 2
	flat_store_dword v[8:9], v19 offset:236
	flat_load_dword v12, v[0:1] offset:48
	flat_load_dwordx2 v[14:15], v[10:11]
	s_waitcnt vmcnt(0) lgkmcnt(0)
	v_ashrrev_i32_e32 v13, 31, v12
	v_lshl_add_u64 v[16:17], v[14:15], 0, v[12:13]
	flat_load_dwordx4 v[12:15], v[16:17] offset:512
	flat_load_dword v20, v[6:7] offset:16
	s_waitcnt vmcnt(0) lgkmcnt(0)
	flat_store_dwordx4 v[6:7], v[12:15]
	flat_load_dword v21, v[4:5] offset:16
	s_nop 0
	flat_load_dwordx4 v[12:15], v[8:9] offset:144
	flat_load_dwordx4 v[16:19], v[8:9] offset:176
	s_waitcnt vmcnt(0) lgkmcnt(0)
	v_dot4c_i32_i8_e32 v12, v21, v20
	s_nop 2
	flat_store_dword v[8:9], v12 offset:144
	flat_load_dword v12, v[4:5] offset:16
	s_nop 0
	flat_load_dword v20, v[6:7] offset:20
	s_waitcnt vmcnt(0) lgkmcnt(0)
	v_dot4c_i32_i8_e32 v13, v12, v20
	s_nop 2
	flat_store_dword v[8:9], v13 offset:148
	flat_load_dword v12, v[4:5] offset:16
	s_nop 0
	flat_load_dword v13, v[6:7] offset:24
	s_waitcnt vmcnt(0) lgkmcnt(0)
	v_dot4c_i32_i8_e32 v14, v12, v13
	s_nop 2
	flat_store_dword v[8:9], v14 offset:152
	flat_load_dword v12, v[4:5] offset:16
	flat_load_dword v13, v[6:7] offset:28
	s_waitcnt vmcnt(0) lgkmcnt(0)
	v_dot4c_i32_i8_e32 v15, v12, v13
	s_nop 2
	flat_store_dword v[8:9], v15 offset:156
	flat_load_dword v12, v[4:5] offset:20
	;; [unrolled: 6-line block ×6, first 2 shown]
	flat_load_dword v21, v[6:7] offset:16
	flat_load_dwordx4 v[12:15], v[8:9] offset:208
	s_nop 0
	flat_load_dwordx4 v[16:19], v[8:9] offset:240
	s_waitcnt vmcnt(0) lgkmcnt(0)
	v_dot4c_i32_i8_e32 v12, v20, v21
	s_nop 2
	flat_store_dword v[8:9], v12 offset:208
	flat_load_dword v12, v[4:5] offset:24
	s_nop 0
	flat_load_dword v20, v[6:7] offset:20
	s_waitcnt vmcnt(0) lgkmcnt(0)
	v_dot4c_i32_i8_e32 v13, v12, v20
	s_nop 2
	flat_store_dword v[8:9], v13 offset:212
	flat_load_dword v12, v[4:5] offset:24
	s_nop 0
	flat_load_dword v13, v[6:7] offset:24
	s_waitcnt vmcnt(0) lgkmcnt(0)
	v_dot4c_i32_i8_e32 v14, v12, v13
	s_nop 2
	flat_store_dword v[8:9], v14 offset:216
	flat_load_dword v12, v[4:5] offset:24
	flat_load_dword v13, v[6:7] offset:28
	s_waitcnt vmcnt(0) lgkmcnt(0)
	v_dot4c_i32_i8_e32 v15, v12, v13
	s_nop 2
	flat_store_dword v[8:9], v15 offset:220
	flat_load_dword v12, v[4:5] offset:28
	;; [unrolled: 6-line block ×6, first 2 shown]
	flat_load_dwordx2 v[14:15], v[10:11]
	s_waitcnt vmcnt(0) lgkmcnt(0)
	v_ashrrev_i32_e32 v13, 31, v12
	v_lshl_add_u64 v[12:13], v[14:15], 0, v[12:13]
	flat_load_dwordx4 v[12:15], v[12:13] offset:768
	s_waitcnt vmcnt(0) lgkmcnt(0)
	flat_store_dwordx4 v[6:7], v[12:15] offset:16
	flat_load_dword v12, v[0:1] offset:16
	s_nop 0
	flat_load_dwordx2 v[14:15], v[2:3]
	s_waitcnt vmcnt(0) lgkmcnt(0)
	v_ashrrev_i32_e32 v13, 31, v12
	v_lshl_add_u64 v[16:17], v[14:15], 0, v[12:13]
	flat_load_dwordx4 v[12:15], v[16:17] offset:768
	flat_load_dword v20, v[4:5]
	s_waitcnt vmcnt(0) lgkmcnt(0)
	flat_store_dwordx4 v[4:5], v[12:15] offset:16
	flat_load_dword v21, v[6:7]
	flat_load_dwordx4 v[16:19], v[8:9]
	s_nop 0
	flat_load_dwordx4 v[12:15], v[8:9] offset:16
	s_waitcnt vmcnt(0) lgkmcnt(0)
	v_dot4c_i32_i8_e32 v16, v20, v21
	s_nop 2
	flat_store_dword v[8:9], v16
	flat_load_dword v16, v[4:5]
	s_nop 0
	flat_load_dword v20, v[6:7] offset:4
	s_waitcnt vmcnt(0) lgkmcnt(0)
	v_dot4c_i32_i8_e32 v17, v16, v20
	s_nop 2
	flat_store_dword v[8:9], v17 offset:4
	flat_load_dword v16, v[4:5]
	s_nop 0
	flat_load_dword v17, v[6:7] offset:8
	s_waitcnt vmcnt(0) lgkmcnt(0)
	v_dot4c_i32_i8_e32 v18, v16, v17
	s_nop 2
	flat_store_dword v[8:9], v18 offset:8
	flat_load_dword v16, v[4:5]
	flat_load_dword v17, v[6:7] offset:12
	s_waitcnt vmcnt(0) lgkmcnt(0)
	v_dot4c_i32_i8_e32 v19, v16, v17
	s_nop 2
	flat_store_dword v[8:9], v19 offset:12
	flat_load_dword v24, v[4:5] offset:4
	flat_load_dword v25, v[6:7]
	s_nop 0
	flat_load_dwordx4 v[16:19], v[8:9] offset:32
	flat_load_dwordx4 v[20:23], v[8:9] offset:48
	s_waitcnt vmcnt(0) lgkmcnt(0)
	v_dot4c_i32_i8_e32 v16, v24, v25
	s_nop 2
	flat_store_dword v[8:9], v16 offset:32
	flat_load_dword v16, v[4:5] offset:4
	s_nop 0
	flat_load_dword v24, v[6:7] offset:4
	s_waitcnt vmcnt(0) lgkmcnt(0)
	v_dot4c_i32_i8_e32 v17, v16, v24
	s_nop 2
	flat_store_dword v[8:9], v17 offset:36
	flat_load_dword v16, v[4:5] offset:4
	s_nop 0
	flat_load_dword v17, v[6:7] offset:8
	s_waitcnt vmcnt(0) lgkmcnt(0)
	v_dot4c_i32_i8_e32 v18, v16, v17
	s_nop 2
	flat_store_dword v[8:9], v18 offset:40
	flat_load_dword v16, v[4:5] offset:4
	flat_load_dword v17, v[6:7] offset:12
	s_waitcnt vmcnt(0) lgkmcnt(0)
	v_dot4c_i32_i8_e32 v19, v16, v17
	s_nop 2
	flat_store_dword v[8:9], v19 offset:44
	flat_load_dword v28, v[4:5] offset:8
	flat_load_dword v29, v[6:7]
	s_nop 0
	flat_load_dwordx4 v[16:19], v[8:9] offset:64
	flat_load_dwordx4 v[24:27], v[8:9] offset:80
	s_waitcnt vmcnt(0) lgkmcnt(0)
	v_dot4c_i32_i8_e32 v16, v28, v29
	s_nop 2
	flat_store_dword v[8:9], v16 offset:64
	flat_load_dword v16, v[4:5] offset:8
	s_nop 0
	flat_load_dword v28, v[6:7] offset:4
	s_waitcnt vmcnt(0) lgkmcnt(0)
	v_dot4c_i32_i8_e32 v17, v16, v28
	s_nop 2
	flat_store_dword v[8:9], v17 offset:68
	flat_load_dword v16, v[4:5] offset:8
	s_nop 0
	flat_load_dword v17, v[6:7] offset:8
	s_waitcnt vmcnt(0) lgkmcnt(0)
	v_dot4c_i32_i8_e32 v18, v16, v17
	s_nop 2
	flat_store_dword v[8:9], v18 offset:72
	flat_load_dword v16, v[4:5] offset:8
	;; [unrolled: 29-line block ×3, first 2 shown]
	flat_load_dword v17, v[6:7] offset:12
	s_waitcnt vmcnt(0) lgkmcnt(0)
	v_dot4c_i32_i8_e32 v19, v16, v17
	s_nop 2
	flat_store_dword v[8:9], v19 offset:108
	flat_load_dword v16, v[4:5]
	flat_load_dword v17, v[6:7] offset:16
	s_waitcnt vmcnt(0) lgkmcnt(0)
	v_dot4c_i32_i8_e32 v12, v16, v17
	s_nop 2
	flat_store_dword v[8:9], v12 offset:16
	flat_load_dword v12, v[4:5]
	s_nop 0
	flat_load_dword v16, v[6:7] offset:20
	s_waitcnt vmcnt(0) lgkmcnt(0)
	v_dot4c_i32_i8_e32 v13, v12, v16
	s_nop 2
	flat_store_dword v[8:9], v13 offset:20
	flat_load_dword v12, v[4:5]
	s_nop 0
	flat_load_dword v13, v[6:7] offset:24
	s_waitcnt vmcnt(0) lgkmcnt(0)
	v_dot4c_i32_i8_e32 v14, v12, v13
	s_nop 2
	flat_store_dword v[8:9], v14 offset:24
	flat_load_dword v12, v[4:5]
	flat_load_dword v13, v[6:7] offset:28
	s_waitcnt vmcnt(0) lgkmcnt(0)
	v_dot4c_i32_i8_e32 v15, v12, v13
	s_nop 2
	flat_store_dword v[8:9], v15 offset:28
	flat_load_dword v12, v[4:5] offset:4
	flat_load_dword v13, v[6:7] offset:16
	s_waitcnt vmcnt(0) lgkmcnt(0)
	v_dot4c_i32_i8_e32 v20, v12, v13
	s_nop 2
	flat_store_dword v[8:9], v20 offset:48
	flat_load_dword v12, v[4:5] offset:4
	;; [unrolled: 6-line block ×13, first 2 shown]
	flat_load_dwordx2 v[14:15], v[2:3]
	s_waitcnt vmcnt(0) lgkmcnt(0)
	v_ashrrev_i32_e32 v13, 31, v12
	v_lshl_add_u64 v[16:17], v[14:15], 0, v[12:13]
	flat_load_dwordx4 v[12:15], v[16:17] offset:1024
	flat_load_dword v20, v[4:5] offset:16
	s_waitcnt vmcnt(0) lgkmcnt(0)
	flat_store_dwordx4 v[4:5], v[12:15]
	flat_load_dword v21, v[6:7]
	s_nop 0
	flat_load_dwordx4 v[12:15], v[8:9] offset:128
	flat_load_dwordx4 v[16:19], v[8:9] offset:160
	s_waitcnt vmcnt(0) lgkmcnt(0)
	v_dot4c_i32_i8_e32 v12, v20, v21
	s_nop 2
	flat_store_dword v[8:9], v12 offset:128
	flat_load_dword v12, v[4:5] offset:16
	s_nop 0
	flat_load_dword v20, v[6:7] offset:4
	s_waitcnt vmcnt(0) lgkmcnt(0)
	v_dot4c_i32_i8_e32 v13, v12, v20
	s_nop 2
	flat_store_dword v[8:9], v13 offset:132
	flat_load_dword v12, v[4:5] offset:16
	s_nop 0
	flat_load_dword v13, v[6:7] offset:8
	s_waitcnt vmcnt(0) lgkmcnt(0)
	v_dot4c_i32_i8_e32 v14, v12, v13
	s_nop 2
	flat_store_dword v[8:9], v14 offset:136
	flat_load_dword v12, v[4:5] offset:16
	flat_load_dword v13, v[6:7] offset:12
	s_waitcnt vmcnt(0) lgkmcnt(0)
	v_dot4c_i32_i8_e32 v15, v12, v13
	s_nop 2
	flat_store_dword v[8:9], v15 offset:140
	flat_load_dword v12, v[4:5] offset:20
	flat_load_dword v13, v[6:7]
	s_waitcnt vmcnt(0) lgkmcnt(0)
	v_dot4c_i32_i8_e32 v16, v12, v13
	s_nop 2
	flat_store_dword v[8:9], v16 offset:160
	flat_load_dword v12, v[4:5] offset:20
	flat_load_dword v13, v[6:7] offset:4
	s_waitcnt vmcnt(0) lgkmcnt(0)
	v_dot4c_i32_i8_e32 v17, v12, v13
	s_nop 2
	flat_store_dword v[8:9], v17 offset:164
	flat_load_dword v12, v[4:5] offset:20
	flat_load_dword v13, v[6:7] offset:8
	s_waitcnt vmcnt(0) lgkmcnt(0)
	v_dot4c_i32_i8_e32 v18, v12, v13
	s_nop 2
	flat_store_dword v[8:9], v18 offset:168
	flat_load_dword v12, v[4:5] offset:20
	flat_load_dword v13, v[6:7] offset:12
	s_waitcnt vmcnt(0) lgkmcnt(0)
	v_dot4c_i32_i8_e32 v19, v12, v13
	s_nop 2
	flat_store_dword v[8:9], v19 offset:172
	flat_load_dword v20, v[4:5] offset:24
	flat_load_dword v21, v[6:7]
	flat_load_dwordx4 v[12:15], v[8:9] offset:192
	s_nop 0
	flat_load_dwordx4 v[16:19], v[8:9] offset:224
	s_waitcnt vmcnt(0) lgkmcnt(0)
	v_dot4c_i32_i8_e32 v12, v20, v21
	s_nop 2
	flat_store_dword v[8:9], v12 offset:192
	flat_load_dword v12, v[4:5] offset:24
	s_nop 0
	flat_load_dword v20, v[6:7] offset:4
	s_waitcnt vmcnt(0) lgkmcnt(0)
	v_dot4c_i32_i8_e32 v13, v12, v20
	s_nop 2
	flat_store_dword v[8:9], v13 offset:196
	flat_load_dword v12, v[4:5] offset:24
	s_nop 0
	flat_load_dword v13, v[6:7] offset:8
	s_waitcnt vmcnt(0) lgkmcnt(0)
	v_dot4c_i32_i8_e32 v14, v12, v13
	s_nop 2
	flat_store_dword v[8:9], v14 offset:200
	flat_load_dword v12, v[4:5] offset:24
	flat_load_dword v13, v[6:7] offset:12
	s_waitcnt vmcnt(0) lgkmcnt(0)
	v_dot4c_i32_i8_e32 v15, v12, v13
	s_nop 2
	flat_store_dword v[8:9], v15 offset:204
	flat_load_dword v12, v[4:5] offset:28
	flat_load_dword v13, v[6:7]
	s_waitcnt vmcnt(0) lgkmcnt(0)
	v_dot4c_i32_i8_e32 v16, v12, v13
	s_nop 2
	flat_store_dword v[8:9], v16 offset:224
	flat_load_dword v12, v[4:5] offset:28
	flat_load_dword v13, v[6:7] offset:4
	s_waitcnt vmcnt(0) lgkmcnt(0)
	v_dot4c_i32_i8_e32 v17, v12, v13
	s_nop 2
	flat_store_dword v[8:9], v17 offset:228
	flat_load_dword v12, v[4:5] offset:28
	flat_load_dword v13, v[6:7] offset:8
	;; [unrolled: 6-line block ×3, first 2 shown]
	s_waitcnt vmcnt(0) lgkmcnt(0)
	v_dot4c_i32_i8_e32 v19, v12, v13
	s_nop 2
	flat_store_dword v[8:9], v19 offset:236
	flat_load_dword v12, v[0:1] offset:48
	flat_load_dwordx2 v[14:15], v[10:11]
	s_waitcnt vmcnt(0) lgkmcnt(0)
	v_ashrrev_i32_e32 v13, 31, v12
	v_lshl_add_u64 v[16:17], v[14:15], 0, v[12:13]
	flat_load_dwordx4 v[12:15], v[16:17] offset:1024
	flat_load_dword v20, v[6:7] offset:16
	s_waitcnt vmcnt(0) lgkmcnt(0)
	flat_store_dwordx4 v[6:7], v[12:15]
	flat_load_dword v21, v[4:5] offset:16
	s_nop 0
	flat_load_dwordx4 v[12:15], v[8:9] offset:144
	flat_load_dwordx4 v[16:19], v[8:9] offset:176
	s_waitcnt vmcnt(0) lgkmcnt(0)
	v_dot4c_i32_i8_e32 v12, v21, v20
	s_nop 2
	flat_store_dword v[8:9], v12 offset:144
	flat_load_dword v12, v[4:5] offset:16
	s_nop 0
	flat_load_dword v20, v[6:7] offset:20
	s_waitcnt vmcnt(0) lgkmcnt(0)
	v_dot4c_i32_i8_e32 v13, v12, v20
	s_nop 2
	flat_store_dword v[8:9], v13 offset:148
	flat_load_dword v12, v[4:5] offset:16
	s_nop 0
	flat_load_dword v13, v[6:7] offset:24
	s_waitcnt vmcnt(0) lgkmcnt(0)
	v_dot4c_i32_i8_e32 v14, v12, v13
	s_nop 2
	flat_store_dword v[8:9], v14 offset:152
	flat_load_dword v12, v[4:5] offset:16
	flat_load_dword v13, v[6:7] offset:28
	s_waitcnt vmcnt(0) lgkmcnt(0)
	v_dot4c_i32_i8_e32 v15, v12, v13
	s_nop 2
	flat_store_dword v[8:9], v15 offset:156
	flat_load_dword v12, v[4:5] offset:20
	;; [unrolled: 6-line block ×6, first 2 shown]
	flat_load_dword v21, v[6:7] offset:16
	flat_load_dwordx4 v[12:15], v[8:9] offset:208
	s_nop 0
	flat_load_dwordx4 v[16:19], v[8:9] offset:240
	s_waitcnt vmcnt(0) lgkmcnt(0)
	v_dot4c_i32_i8_e32 v12, v20, v21
	s_nop 2
	flat_store_dword v[8:9], v12 offset:208
	flat_load_dword v12, v[4:5] offset:24
	s_nop 0
	flat_load_dword v20, v[6:7] offset:20
	s_waitcnt vmcnt(0) lgkmcnt(0)
	v_dot4c_i32_i8_e32 v13, v12, v20
	s_nop 2
	flat_store_dword v[8:9], v13 offset:212
	flat_load_dword v12, v[4:5] offset:24
	s_nop 0
	flat_load_dword v13, v[6:7] offset:24
	s_waitcnt vmcnt(0) lgkmcnt(0)
	v_dot4c_i32_i8_e32 v14, v12, v13
	s_nop 2
	flat_store_dword v[8:9], v14 offset:216
	flat_load_dword v12, v[4:5] offset:24
	flat_load_dword v13, v[6:7] offset:28
	s_waitcnt vmcnt(0) lgkmcnt(0)
	v_dot4c_i32_i8_e32 v15, v12, v13
	s_nop 2
	flat_store_dword v[8:9], v15 offset:220
	flat_load_dword v12, v[4:5] offset:28
	;; [unrolled: 6-line block ×6, first 2 shown]
	flat_load_dwordx2 v[14:15], v[10:11]
	s_waitcnt vmcnt(0) lgkmcnt(0)
	v_ashrrev_i32_e32 v13, 31, v12
	v_lshl_add_u64 v[12:13], v[14:15], 0, v[12:13]
	flat_load_dwordx4 v[12:15], v[12:13] offset:1280
	s_waitcnt vmcnt(0) lgkmcnt(0)
	flat_store_dwordx4 v[6:7], v[12:15] offset:16
	flat_load_dword v12, v[0:1] offset:16
	s_nop 0
	flat_load_dwordx2 v[14:15], v[2:3]
	s_waitcnt vmcnt(0) lgkmcnt(0)
	v_ashrrev_i32_e32 v13, 31, v12
	v_lshl_add_u64 v[16:17], v[14:15], 0, v[12:13]
	flat_load_dwordx4 v[12:15], v[16:17] offset:1280
	flat_load_dword v20, v[4:5]
	s_waitcnt vmcnt(0) lgkmcnt(0)
	flat_store_dwordx4 v[4:5], v[12:15] offset:16
	flat_load_dword v21, v[6:7]
	flat_load_dwordx4 v[16:19], v[8:9]
	s_nop 0
	flat_load_dwordx4 v[12:15], v[8:9] offset:16
	s_waitcnt vmcnt(0) lgkmcnt(0)
	v_dot4c_i32_i8_e32 v16, v20, v21
	s_nop 2
	flat_store_dword v[8:9], v16
	flat_load_dword v16, v[4:5]
	s_nop 0
	flat_load_dword v20, v[6:7] offset:4
	s_waitcnt vmcnt(0) lgkmcnt(0)
	v_dot4c_i32_i8_e32 v17, v16, v20
	s_nop 2
	flat_store_dword v[8:9], v17 offset:4
	flat_load_dword v16, v[4:5]
	s_nop 0
	flat_load_dword v17, v[6:7] offset:8
	s_waitcnt vmcnt(0) lgkmcnt(0)
	v_dot4c_i32_i8_e32 v18, v16, v17
	s_nop 2
	flat_store_dword v[8:9], v18 offset:8
	flat_load_dword v16, v[4:5]
	flat_load_dword v17, v[6:7] offset:12
	s_waitcnt vmcnt(0) lgkmcnt(0)
	v_dot4c_i32_i8_e32 v19, v16, v17
	s_nop 2
	flat_store_dword v[8:9], v19 offset:12
	flat_load_dword v24, v[4:5] offset:4
	flat_load_dword v25, v[6:7]
	s_nop 0
	flat_load_dwordx4 v[16:19], v[8:9] offset:32
	flat_load_dwordx4 v[20:23], v[8:9] offset:48
	s_waitcnt vmcnt(0) lgkmcnt(0)
	v_dot4c_i32_i8_e32 v16, v24, v25
	s_nop 2
	flat_store_dword v[8:9], v16 offset:32
	flat_load_dword v16, v[4:5] offset:4
	s_nop 0
	flat_load_dword v24, v[6:7] offset:4
	s_waitcnt vmcnt(0) lgkmcnt(0)
	v_dot4c_i32_i8_e32 v17, v16, v24
	s_nop 2
	flat_store_dword v[8:9], v17 offset:36
	flat_load_dword v16, v[4:5] offset:4
	s_nop 0
	flat_load_dword v17, v[6:7] offset:8
	s_waitcnt vmcnt(0) lgkmcnt(0)
	v_dot4c_i32_i8_e32 v18, v16, v17
	s_nop 2
	flat_store_dword v[8:9], v18 offset:40
	flat_load_dword v16, v[4:5] offset:4
	flat_load_dword v17, v[6:7] offset:12
	s_waitcnt vmcnt(0) lgkmcnt(0)
	v_dot4c_i32_i8_e32 v19, v16, v17
	s_nop 2
	flat_store_dword v[8:9], v19 offset:44
	flat_load_dword v28, v[4:5] offset:8
	flat_load_dword v29, v[6:7]
	s_nop 0
	flat_load_dwordx4 v[16:19], v[8:9] offset:64
	flat_load_dwordx4 v[24:27], v[8:9] offset:80
	s_waitcnt vmcnt(0) lgkmcnt(0)
	v_dot4c_i32_i8_e32 v16, v28, v29
	s_nop 2
	flat_store_dword v[8:9], v16 offset:64
	flat_load_dword v16, v[4:5] offset:8
	s_nop 0
	flat_load_dword v28, v[6:7] offset:4
	s_waitcnt vmcnt(0) lgkmcnt(0)
	v_dot4c_i32_i8_e32 v17, v16, v28
	s_nop 2
	flat_store_dword v[8:9], v17 offset:68
	flat_load_dword v16, v[4:5] offset:8
	s_nop 0
	flat_load_dword v17, v[6:7] offset:8
	s_waitcnt vmcnt(0) lgkmcnt(0)
	v_dot4c_i32_i8_e32 v18, v16, v17
	s_nop 2
	flat_store_dword v[8:9], v18 offset:72
	flat_load_dword v16, v[4:5] offset:8
	;; [unrolled: 29-line block ×3, first 2 shown]
	flat_load_dword v17, v[6:7] offset:12
	s_waitcnt vmcnt(0) lgkmcnt(0)
	v_dot4c_i32_i8_e32 v19, v16, v17
	s_nop 2
	flat_store_dword v[8:9], v19 offset:108
	flat_load_dword v16, v[4:5]
	flat_load_dword v17, v[6:7] offset:16
	s_waitcnt vmcnt(0) lgkmcnt(0)
	v_dot4c_i32_i8_e32 v12, v16, v17
	s_nop 2
	flat_store_dword v[8:9], v12 offset:16
	flat_load_dword v12, v[4:5]
	s_nop 0
	flat_load_dword v16, v[6:7] offset:20
	s_waitcnt vmcnt(0) lgkmcnt(0)
	v_dot4c_i32_i8_e32 v13, v12, v16
	s_nop 2
	flat_store_dword v[8:9], v13 offset:20
	flat_load_dword v12, v[4:5]
	s_nop 0
	flat_load_dword v13, v[6:7] offset:24
	s_waitcnt vmcnt(0) lgkmcnt(0)
	v_dot4c_i32_i8_e32 v14, v12, v13
	s_nop 2
	flat_store_dword v[8:9], v14 offset:24
	flat_load_dword v12, v[4:5]
	flat_load_dword v13, v[6:7] offset:28
	s_waitcnt vmcnt(0) lgkmcnt(0)
	v_dot4c_i32_i8_e32 v15, v12, v13
	s_nop 2
	flat_store_dword v[8:9], v15 offset:28
	flat_load_dword v12, v[4:5] offset:4
	flat_load_dword v13, v[6:7] offset:16
	s_waitcnt vmcnt(0) lgkmcnt(0)
	v_dot4c_i32_i8_e32 v20, v12, v13
	s_nop 2
	flat_store_dword v[8:9], v20 offset:48
	flat_load_dword v12, v[4:5] offset:4
	;; [unrolled: 6-line block ×13, first 2 shown]
	flat_load_dwordx2 v[14:15], v[2:3]
	s_waitcnt vmcnt(0) lgkmcnt(0)
	v_ashrrev_i32_e32 v13, 31, v12
	v_lshl_add_u64 v[16:17], v[14:15], 0, v[12:13]
	flat_load_dwordx4 v[12:15], v[16:17] offset:1536
	flat_load_dword v20, v[4:5] offset:16
	s_waitcnt vmcnt(0) lgkmcnt(0)
	flat_store_dwordx4 v[4:5], v[12:15]
	flat_load_dword v21, v[6:7]
	s_nop 0
	flat_load_dwordx4 v[12:15], v[8:9] offset:128
	flat_load_dwordx4 v[16:19], v[8:9] offset:160
	s_waitcnt vmcnt(0) lgkmcnt(0)
	v_dot4c_i32_i8_e32 v12, v20, v21
	s_nop 2
	flat_store_dword v[8:9], v12 offset:128
	flat_load_dword v12, v[4:5] offset:16
	s_nop 0
	flat_load_dword v20, v[6:7] offset:4
	s_waitcnt vmcnt(0) lgkmcnt(0)
	v_dot4c_i32_i8_e32 v13, v12, v20
	s_nop 2
	flat_store_dword v[8:9], v13 offset:132
	flat_load_dword v12, v[4:5] offset:16
	s_nop 0
	flat_load_dword v13, v[6:7] offset:8
	s_waitcnt vmcnt(0) lgkmcnt(0)
	v_dot4c_i32_i8_e32 v14, v12, v13
	s_nop 2
	flat_store_dword v[8:9], v14 offset:136
	flat_load_dword v12, v[4:5] offset:16
	flat_load_dword v13, v[6:7] offset:12
	s_waitcnt vmcnt(0) lgkmcnt(0)
	v_dot4c_i32_i8_e32 v15, v12, v13
	s_nop 2
	flat_store_dword v[8:9], v15 offset:140
	flat_load_dword v12, v[4:5] offset:20
	flat_load_dword v13, v[6:7]
	s_waitcnt vmcnt(0) lgkmcnt(0)
	v_dot4c_i32_i8_e32 v16, v12, v13
	s_nop 2
	flat_store_dword v[8:9], v16 offset:160
	flat_load_dword v12, v[4:5] offset:20
	flat_load_dword v13, v[6:7] offset:4
	s_waitcnt vmcnt(0) lgkmcnt(0)
	v_dot4c_i32_i8_e32 v17, v12, v13
	s_nop 2
	flat_store_dword v[8:9], v17 offset:164
	flat_load_dword v12, v[4:5] offset:20
	flat_load_dword v13, v[6:7] offset:8
	;; [unrolled: 6-line block ×3, first 2 shown]
	s_waitcnt vmcnt(0) lgkmcnt(0)
	v_dot4c_i32_i8_e32 v19, v12, v13
	s_nop 2
	flat_store_dword v[8:9], v19 offset:172
	flat_load_dword v20, v[4:5] offset:24
	flat_load_dword v21, v[6:7]
	flat_load_dwordx4 v[12:15], v[8:9] offset:192
	s_nop 0
	flat_load_dwordx4 v[16:19], v[8:9] offset:224
	s_waitcnt vmcnt(0) lgkmcnt(0)
	v_dot4c_i32_i8_e32 v12, v20, v21
	s_nop 2
	flat_store_dword v[8:9], v12 offset:192
	flat_load_dword v12, v[4:5] offset:24
	s_nop 0
	flat_load_dword v20, v[6:7] offset:4
	s_waitcnt vmcnt(0) lgkmcnt(0)
	v_dot4c_i32_i8_e32 v13, v12, v20
	s_nop 2
	flat_store_dword v[8:9], v13 offset:196
	flat_load_dword v12, v[4:5] offset:24
	s_nop 0
	flat_load_dword v13, v[6:7] offset:8
	s_waitcnt vmcnt(0) lgkmcnt(0)
	v_dot4c_i32_i8_e32 v14, v12, v13
	s_nop 2
	flat_store_dword v[8:9], v14 offset:200
	flat_load_dword v12, v[4:5] offset:24
	flat_load_dword v13, v[6:7] offset:12
	s_waitcnt vmcnt(0) lgkmcnt(0)
	v_dot4c_i32_i8_e32 v15, v12, v13
	s_nop 2
	flat_store_dword v[8:9], v15 offset:204
	flat_load_dword v12, v[4:5] offset:28
	flat_load_dword v13, v[6:7]
	s_waitcnt vmcnt(0) lgkmcnt(0)
	v_dot4c_i32_i8_e32 v16, v12, v13
	s_nop 2
	flat_store_dword v[8:9], v16 offset:224
	flat_load_dword v12, v[4:5] offset:28
	flat_load_dword v13, v[6:7] offset:4
	s_waitcnt vmcnt(0) lgkmcnt(0)
	v_dot4c_i32_i8_e32 v17, v12, v13
	s_nop 2
	flat_store_dword v[8:9], v17 offset:228
	flat_load_dword v12, v[4:5] offset:28
	flat_load_dword v13, v[6:7] offset:8
	;; [unrolled: 6-line block ×3, first 2 shown]
	s_waitcnt vmcnt(0) lgkmcnt(0)
	v_dot4c_i32_i8_e32 v19, v12, v13
	s_nop 2
	flat_store_dword v[8:9], v19 offset:236
	flat_load_dword v12, v[0:1] offset:48
	flat_load_dwordx2 v[14:15], v[10:11]
	s_waitcnt vmcnt(0) lgkmcnt(0)
	v_ashrrev_i32_e32 v13, 31, v12
	v_lshl_add_u64 v[16:17], v[14:15], 0, v[12:13]
	flat_load_dwordx4 v[12:15], v[16:17] offset:1536
	flat_load_dword v20, v[6:7] offset:16
	s_waitcnt vmcnt(0) lgkmcnt(0)
	flat_store_dwordx4 v[6:7], v[12:15]
	flat_load_dword v21, v[4:5] offset:16
	s_nop 0
	flat_load_dwordx4 v[12:15], v[8:9] offset:144
	flat_load_dwordx4 v[16:19], v[8:9] offset:176
	s_waitcnt vmcnt(0) lgkmcnt(0)
	v_dot4c_i32_i8_e32 v12, v21, v20
	s_nop 2
	flat_store_dword v[8:9], v12 offset:144
	flat_load_dword v12, v[4:5] offset:16
	s_nop 0
	flat_load_dword v20, v[6:7] offset:20
	s_waitcnt vmcnt(0) lgkmcnt(0)
	v_dot4c_i32_i8_e32 v13, v12, v20
	s_nop 2
	flat_store_dword v[8:9], v13 offset:148
	flat_load_dword v12, v[4:5] offset:16
	s_nop 0
	flat_load_dword v13, v[6:7] offset:24
	s_waitcnt vmcnt(0) lgkmcnt(0)
	v_dot4c_i32_i8_e32 v14, v12, v13
	s_nop 2
	flat_store_dword v[8:9], v14 offset:152
	flat_load_dword v12, v[4:5] offset:16
	flat_load_dword v13, v[6:7] offset:28
	s_waitcnt vmcnt(0) lgkmcnt(0)
	v_dot4c_i32_i8_e32 v15, v12, v13
	s_nop 2
	flat_store_dword v[8:9], v15 offset:156
	flat_load_dword v12, v[4:5] offset:20
	flat_load_dword v13, v[6:7] offset:16
	s_waitcnt vmcnt(0) lgkmcnt(0)
	v_dot4c_i32_i8_e32 v16, v12, v13
	s_nop 2
	flat_store_dword v[8:9], v16 offset:176
	flat_load_dword v12, v[4:5] offset:20
	flat_load_dword v13, v[6:7] offset:20
	s_waitcnt vmcnt(0) lgkmcnt(0)
	v_dot4c_i32_i8_e32 v17, v12, v13
	s_nop 2
	flat_store_dword v[8:9], v17 offset:180
	flat_load_dword v12, v[4:5] offset:20
	flat_load_dword v13, v[6:7] offset:24
	s_waitcnt vmcnt(0) lgkmcnt(0)
	v_dot4c_i32_i8_e32 v18, v12, v13
	s_nop 2
	flat_store_dword v[8:9], v18 offset:184
	flat_load_dword v12, v[4:5] offset:20
	flat_load_dword v13, v[6:7] offset:28
	s_waitcnt vmcnt(0) lgkmcnt(0)
	v_dot4c_i32_i8_e32 v19, v12, v13
	s_nop 2
	flat_store_dword v[8:9], v19 offset:188
	flat_load_dword v20, v[4:5] offset:24
	flat_load_dword v21, v[6:7] offset:16
	flat_load_dwordx4 v[12:15], v[8:9] offset:208
	s_nop 0
	flat_load_dwordx4 v[16:19], v[8:9] offset:240
	s_waitcnt vmcnt(0) lgkmcnt(0)
	v_dot4c_i32_i8_e32 v12, v20, v21
	s_nop 2
	flat_store_dword v[8:9], v12 offset:208
	flat_load_dword v12, v[4:5] offset:24
	s_nop 0
	flat_load_dword v20, v[6:7] offset:20
	s_waitcnt vmcnt(0) lgkmcnt(0)
	v_dot4c_i32_i8_e32 v13, v12, v20
	s_nop 2
	flat_store_dword v[8:9], v13 offset:212
	flat_load_dword v12, v[4:5] offset:24
	s_nop 0
	flat_load_dword v13, v[6:7] offset:24
	s_waitcnt vmcnt(0) lgkmcnt(0)
	v_dot4c_i32_i8_e32 v14, v12, v13
	s_nop 2
	flat_store_dword v[8:9], v14 offset:216
	flat_load_dword v12, v[4:5] offset:24
	flat_load_dword v13, v[6:7] offset:28
	s_waitcnt vmcnt(0) lgkmcnt(0)
	v_dot4c_i32_i8_e32 v15, v12, v13
	s_nop 2
	flat_store_dword v[8:9], v15 offset:220
	flat_load_dword v12, v[4:5] offset:28
	;; [unrolled: 6-line block ×6, first 2 shown]
	flat_load_dwordx2 v[14:15], v[10:11]
	s_waitcnt vmcnt(0) lgkmcnt(0)
	v_ashrrev_i32_e32 v13, 31, v12
	v_lshl_add_u64 v[12:13], v[14:15], 0, v[12:13]
	flat_load_dwordx4 v[12:15], v[12:13] offset:1792
	s_waitcnt vmcnt(0) lgkmcnt(0)
	flat_store_dwordx4 v[6:7], v[12:15] offset:16
	flat_load_dword v12, v[0:1] offset:16
	s_nop 0
	flat_load_dwordx2 v[14:15], v[2:3]
	s_waitcnt vmcnt(0) lgkmcnt(0)
	v_ashrrev_i32_e32 v13, 31, v12
	v_lshl_add_u64 v[16:17], v[14:15], 0, v[12:13]
	flat_load_dwordx4 v[12:15], v[16:17] offset:1792
	flat_load_dword v20, v[4:5]
	s_waitcnt vmcnt(0) lgkmcnt(0)
	flat_store_dwordx4 v[4:5], v[12:15] offset:16
	flat_load_dword v21, v[6:7]
	flat_load_dwordx4 v[16:19], v[8:9]
	s_nop 0
	flat_load_dwordx4 v[12:15], v[8:9] offset:16
	s_waitcnt vmcnt(0) lgkmcnt(0)
	v_dot4c_i32_i8_e32 v16, v20, v21
	s_nop 2
	flat_store_dword v[8:9], v16
	flat_load_dword v16, v[4:5]
	s_nop 0
	flat_load_dword v20, v[6:7] offset:4
	s_waitcnt vmcnt(0) lgkmcnt(0)
	v_dot4c_i32_i8_e32 v17, v16, v20
	s_nop 2
	flat_store_dword v[8:9], v17 offset:4
	flat_load_dword v16, v[4:5]
	s_nop 0
	flat_load_dword v17, v[6:7] offset:8
	s_waitcnt vmcnt(0) lgkmcnt(0)
	v_dot4c_i32_i8_e32 v18, v16, v17
	s_nop 2
	flat_store_dword v[8:9], v18 offset:8
	flat_load_dword v16, v[4:5]
	flat_load_dword v17, v[6:7] offset:12
	s_waitcnt vmcnt(0) lgkmcnt(0)
	v_dot4c_i32_i8_e32 v19, v16, v17
	s_nop 2
	flat_store_dword v[8:9], v19 offset:12
	flat_load_dword v24, v[4:5] offset:4
	flat_load_dword v25, v[6:7]
	s_nop 0
	flat_load_dwordx4 v[16:19], v[8:9] offset:32
	flat_load_dwordx4 v[20:23], v[8:9] offset:48
	s_waitcnt vmcnt(0) lgkmcnt(0)
	v_dot4c_i32_i8_e32 v16, v24, v25
	s_nop 2
	flat_store_dword v[8:9], v16 offset:32
	flat_load_dword v16, v[4:5] offset:4
	s_nop 0
	flat_load_dword v24, v[6:7] offset:4
	s_waitcnt vmcnt(0) lgkmcnt(0)
	v_dot4c_i32_i8_e32 v17, v16, v24
	s_nop 2
	flat_store_dword v[8:9], v17 offset:36
	flat_load_dword v16, v[4:5] offset:4
	s_nop 0
	flat_load_dword v17, v[6:7] offset:8
	s_waitcnt vmcnt(0) lgkmcnt(0)
	v_dot4c_i32_i8_e32 v18, v16, v17
	s_nop 2
	flat_store_dword v[8:9], v18 offset:40
	flat_load_dword v16, v[4:5] offset:4
	flat_load_dword v17, v[6:7] offset:12
	s_waitcnt vmcnt(0) lgkmcnt(0)
	v_dot4c_i32_i8_e32 v19, v16, v17
	s_nop 2
	flat_store_dword v[8:9], v19 offset:44
	flat_load_dword v28, v[4:5] offset:8
	flat_load_dword v29, v[6:7]
	s_nop 0
	flat_load_dwordx4 v[16:19], v[8:9] offset:64
	flat_load_dwordx4 v[24:27], v[8:9] offset:80
	s_waitcnt vmcnt(0) lgkmcnt(0)
	v_dot4c_i32_i8_e32 v16, v28, v29
	s_nop 2
	flat_store_dword v[8:9], v16 offset:64
	flat_load_dword v16, v[4:5] offset:8
	s_nop 0
	flat_load_dword v28, v[6:7] offset:4
	s_waitcnt vmcnt(0) lgkmcnt(0)
	v_dot4c_i32_i8_e32 v17, v16, v28
	s_nop 2
	flat_store_dword v[8:9], v17 offset:68
	flat_load_dword v16, v[4:5] offset:8
	s_nop 0
	flat_load_dword v17, v[6:7] offset:8
	s_waitcnt vmcnt(0) lgkmcnt(0)
	v_dot4c_i32_i8_e32 v18, v16, v17
	s_nop 2
	flat_store_dword v[8:9], v18 offset:72
	flat_load_dword v16, v[4:5] offset:8
	;; [unrolled: 29-line block ×3, first 2 shown]
	flat_load_dword v17, v[6:7] offset:12
	s_waitcnt vmcnt(0) lgkmcnt(0)
	v_dot4c_i32_i8_e32 v19, v16, v17
	s_nop 2
	flat_store_dword v[8:9], v19 offset:108
	flat_load_dword v16, v[4:5]
	flat_load_dword v17, v[6:7] offset:16
	s_waitcnt vmcnt(0) lgkmcnt(0)
	v_dot4c_i32_i8_e32 v12, v16, v17
	s_nop 2
	flat_store_dword v[8:9], v12 offset:16
	flat_load_dword v12, v[4:5]
	s_nop 0
	flat_load_dword v16, v[6:7] offset:20
	s_waitcnt vmcnt(0) lgkmcnt(0)
	v_dot4c_i32_i8_e32 v13, v12, v16
	s_nop 2
	flat_store_dword v[8:9], v13 offset:20
	flat_load_dword v12, v[4:5]
	s_nop 0
	flat_load_dword v13, v[6:7] offset:24
	s_waitcnt vmcnt(0) lgkmcnt(0)
	v_dot4c_i32_i8_e32 v14, v12, v13
	s_nop 2
	flat_store_dword v[8:9], v14 offset:24
	flat_load_dword v12, v[4:5]
	flat_load_dword v13, v[6:7] offset:28
	s_waitcnt vmcnt(0) lgkmcnt(0)
	v_dot4c_i32_i8_e32 v15, v12, v13
	s_nop 2
	flat_store_dword v[8:9], v15 offset:28
	flat_load_dword v12, v[4:5] offset:4
	flat_load_dword v13, v[6:7] offset:16
	s_waitcnt vmcnt(0) lgkmcnt(0)
	v_dot4c_i32_i8_e32 v20, v12, v13
	s_nop 2
	flat_store_dword v[8:9], v20 offset:48
	flat_load_dword v12, v[4:5] offset:4
	;; [unrolled: 6-line block ×13, first 2 shown]
	flat_load_dwordx2 v[14:15], v[2:3]
	s_waitcnt vmcnt(0) lgkmcnt(0)
	v_ashrrev_i32_e32 v13, 31, v12
	v_lshl_add_u64 v[16:17], v[14:15], 0, v[12:13]
	flat_load_dwordx4 v[12:15], v[16:17] offset:2048
	flat_load_dword v20, v[4:5] offset:16
	s_waitcnt vmcnt(0) lgkmcnt(0)
	flat_store_dwordx4 v[4:5], v[12:15]
	flat_load_dword v21, v[6:7]
	s_nop 0
	flat_load_dwordx4 v[12:15], v[8:9] offset:128
	flat_load_dwordx4 v[16:19], v[8:9] offset:160
	s_waitcnt vmcnt(0) lgkmcnt(0)
	v_dot4c_i32_i8_e32 v12, v20, v21
	s_nop 2
	flat_store_dword v[8:9], v12 offset:128
	flat_load_dword v12, v[4:5] offset:16
	s_nop 0
	flat_load_dword v20, v[6:7] offset:4
	s_waitcnt vmcnt(0) lgkmcnt(0)
	v_dot4c_i32_i8_e32 v13, v12, v20
	s_nop 2
	flat_store_dword v[8:9], v13 offset:132
	flat_load_dword v12, v[4:5] offset:16
	s_nop 0
	flat_load_dword v13, v[6:7] offset:8
	s_waitcnt vmcnt(0) lgkmcnt(0)
	v_dot4c_i32_i8_e32 v14, v12, v13
	s_nop 2
	flat_store_dword v[8:9], v14 offset:136
	flat_load_dword v12, v[4:5] offset:16
	flat_load_dword v13, v[6:7] offset:12
	s_waitcnt vmcnt(0) lgkmcnt(0)
	v_dot4c_i32_i8_e32 v15, v12, v13
	s_nop 2
	flat_store_dword v[8:9], v15 offset:140
	flat_load_dword v12, v[4:5] offset:20
	flat_load_dword v13, v[6:7]
	s_waitcnt vmcnt(0) lgkmcnt(0)
	v_dot4c_i32_i8_e32 v16, v12, v13
	s_nop 2
	flat_store_dword v[8:9], v16 offset:160
	flat_load_dword v12, v[4:5] offset:20
	flat_load_dword v13, v[6:7] offset:4
	s_waitcnt vmcnt(0) lgkmcnt(0)
	v_dot4c_i32_i8_e32 v17, v12, v13
	s_nop 2
	flat_store_dword v[8:9], v17 offset:164
	flat_load_dword v12, v[4:5] offset:20
	flat_load_dword v13, v[6:7] offset:8
	;; [unrolled: 6-line block ×3, first 2 shown]
	s_waitcnt vmcnt(0) lgkmcnt(0)
	v_dot4c_i32_i8_e32 v19, v12, v13
	s_nop 2
	flat_store_dword v[8:9], v19 offset:172
	flat_load_dword v20, v[4:5] offset:24
	flat_load_dword v21, v[6:7]
	flat_load_dwordx4 v[12:15], v[8:9] offset:192
	s_nop 0
	flat_load_dwordx4 v[16:19], v[8:9] offset:224
	s_waitcnt vmcnt(0) lgkmcnt(0)
	v_dot4c_i32_i8_e32 v12, v20, v21
	s_nop 2
	flat_store_dword v[8:9], v12 offset:192
	flat_load_dword v12, v[4:5] offset:24
	s_nop 0
	flat_load_dword v20, v[6:7] offset:4
	s_waitcnt vmcnt(0) lgkmcnt(0)
	v_dot4c_i32_i8_e32 v13, v12, v20
	s_nop 2
	flat_store_dword v[8:9], v13 offset:196
	flat_load_dword v12, v[4:5] offset:24
	s_nop 0
	flat_load_dword v13, v[6:7] offset:8
	s_waitcnt vmcnt(0) lgkmcnt(0)
	v_dot4c_i32_i8_e32 v14, v12, v13
	s_nop 2
	flat_store_dword v[8:9], v14 offset:200
	flat_load_dword v12, v[4:5] offset:24
	flat_load_dword v13, v[6:7] offset:12
	s_waitcnt vmcnt(0) lgkmcnt(0)
	v_dot4c_i32_i8_e32 v15, v12, v13
	s_nop 2
	flat_store_dword v[8:9], v15 offset:204
	flat_load_dword v12, v[4:5] offset:28
	flat_load_dword v13, v[6:7]
	s_waitcnt vmcnt(0) lgkmcnt(0)
	v_dot4c_i32_i8_e32 v16, v12, v13
	s_nop 2
	flat_store_dword v[8:9], v16 offset:224
	flat_load_dword v12, v[4:5] offset:28
	flat_load_dword v13, v[6:7] offset:4
	s_waitcnt vmcnt(0) lgkmcnt(0)
	v_dot4c_i32_i8_e32 v17, v12, v13
	s_nop 2
	flat_store_dword v[8:9], v17 offset:228
	flat_load_dword v12, v[4:5] offset:28
	flat_load_dword v13, v[6:7] offset:8
	;; [unrolled: 6-line block ×3, first 2 shown]
	s_waitcnt vmcnt(0) lgkmcnt(0)
	v_dot4c_i32_i8_e32 v19, v12, v13
	s_nop 2
	flat_store_dword v[8:9], v19 offset:236
	flat_load_dword v12, v[0:1] offset:48
	flat_load_dwordx2 v[14:15], v[10:11]
	s_waitcnt vmcnt(0) lgkmcnt(0)
	v_ashrrev_i32_e32 v13, 31, v12
	v_lshl_add_u64 v[16:17], v[14:15], 0, v[12:13]
	flat_load_dwordx4 v[12:15], v[16:17] offset:2048
	flat_load_dword v20, v[6:7] offset:16
	s_waitcnt vmcnt(0) lgkmcnt(0)
	flat_store_dwordx4 v[6:7], v[12:15]
	flat_load_dword v21, v[4:5] offset:16
	s_nop 0
	flat_load_dwordx4 v[12:15], v[8:9] offset:144
	flat_load_dwordx4 v[16:19], v[8:9] offset:176
	s_waitcnt vmcnt(0) lgkmcnt(0)
	v_dot4c_i32_i8_e32 v12, v21, v20
	s_nop 2
	flat_store_dword v[8:9], v12 offset:144
	flat_load_dword v12, v[4:5] offset:16
	s_nop 0
	flat_load_dword v20, v[6:7] offset:20
	s_waitcnt vmcnt(0) lgkmcnt(0)
	v_dot4c_i32_i8_e32 v13, v12, v20
	s_nop 2
	flat_store_dword v[8:9], v13 offset:148
	flat_load_dword v12, v[4:5] offset:16
	s_nop 0
	flat_load_dword v13, v[6:7] offset:24
	s_waitcnt vmcnt(0) lgkmcnt(0)
	v_dot4c_i32_i8_e32 v14, v12, v13
	s_nop 2
	flat_store_dword v[8:9], v14 offset:152
	flat_load_dword v12, v[4:5] offset:16
	flat_load_dword v13, v[6:7] offset:28
	s_waitcnt vmcnt(0) lgkmcnt(0)
	v_dot4c_i32_i8_e32 v15, v12, v13
	s_nop 2
	flat_store_dword v[8:9], v15 offset:156
	flat_load_dword v12, v[4:5] offset:20
	;; [unrolled: 6-line block ×6, first 2 shown]
	flat_load_dword v21, v[6:7] offset:16
	flat_load_dwordx4 v[12:15], v[8:9] offset:208
	s_nop 0
	flat_load_dwordx4 v[16:19], v[8:9] offset:240
	s_waitcnt vmcnt(0) lgkmcnt(0)
	v_dot4c_i32_i8_e32 v12, v20, v21
	s_nop 2
	flat_store_dword v[8:9], v12 offset:208
	flat_load_dword v12, v[4:5] offset:24
	s_nop 0
	flat_load_dword v20, v[6:7] offset:20
	s_waitcnt vmcnt(0) lgkmcnt(0)
	v_dot4c_i32_i8_e32 v13, v12, v20
	s_nop 2
	flat_store_dword v[8:9], v13 offset:212
	flat_load_dword v12, v[4:5] offset:24
	s_nop 0
	flat_load_dword v13, v[6:7] offset:24
	s_waitcnt vmcnt(0) lgkmcnt(0)
	v_dot4c_i32_i8_e32 v14, v12, v13
	s_nop 2
	flat_store_dword v[8:9], v14 offset:216
	flat_load_dword v12, v[4:5] offset:24
	flat_load_dword v13, v[6:7] offset:28
	s_waitcnt vmcnt(0) lgkmcnt(0)
	v_dot4c_i32_i8_e32 v15, v12, v13
	s_nop 2
	flat_store_dword v[8:9], v15 offset:220
	flat_load_dword v12, v[4:5] offset:28
	;; [unrolled: 6-line block ×6, first 2 shown]
	flat_load_dwordx2 v[14:15], v[10:11]
	s_waitcnt vmcnt(0) lgkmcnt(0)
	v_ashrrev_i32_e32 v13, 31, v12
	v_lshl_add_u64 v[12:13], v[14:15], 0, v[12:13]
	flat_load_dwordx4 v[12:15], v[12:13] offset:2304
	s_waitcnt vmcnt(0) lgkmcnt(0)
	flat_store_dwordx4 v[6:7], v[12:15] offset:16
	flat_load_dword v12, v[0:1] offset:16
	s_nop 0
	flat_load_dwordx2 v[14:15], v[2:3]
	s_waitcnt vmcnt(0) lgkmcnt(0)
	v_ashrrev_i32_e32 v13, 31, v12
	v_lshl_add_u64 v[16:17], v[14:15], 0, v[12:13]
	flat_load_dwordx4 v[12:15], v[16:17] offset:2304
	flat_load_dword v20, v[4:5]
	s_waitcnt vmcnt(0) lgkmcnt(0)
	flat_store_dwordx4 v[4:5], v[12:15] offset:16
	flat_load_dword v21, v[6:7]
	s_nop 0
	flat_load_dwordx4 v[12:15], v[8:9]
	flat_load_dwordx4 v[16:19], v[8:9] offset:16
	s_waitcnt vmcnt(0) lgkmcnt(0)
	v_dot4c_i32_i8_e32 v12, v20, v21
	s_nop 2
	flat_store_dword v[8:9], v12
	flat_load_dword v12, v[4:5]
	s_nop 0
	flat_load_dword v20, v[6:7] offset:4
	s_waitcnt vmcnt(0) lgkmcnt(0)
	v_dot4c_i32_i8_e32 v13, v12, v20
	s_nop 2
	flat_store_dword v[8:9], v13 offset:4
	flat_load_dword v12, v[4:5]
	s_nop 0
	flat_load_dword v13, v[6:7] offset:8
	s_waitcnt vmcnt(0) lgkmcnt(0)
	v_dot4c_i32_i8_e32 v14, v12, v13
	s_nop 2
	flat_store_dword v[8:9], v14 offset:8
	flat_load_dword v12, v[4:5]
	flat_load_dword v13, v[6:7] offset:12
	s_waitcnt vmcnt(0) lgkmcnt(0)
	v_dot4c_i32_i8_e32 v15, v12, v13
	s_nop 2
	flat_store_dword v[8:9], v15 offset:12
	flat_load_dword v24, v[4:5] offset:4
	flat_load_dword v25, v[6:7]
	s_nop 0
	flat_load_dwordx4 v[12:15], v[8:9] offset:32
	flat_load_dwordx4 v[20:23], v[8:9] offset:48
	s_waitcnt vmcnt(0) lgkmcnt(0)
	v_dot4c_i32_i8_e32 v12, v24, v25
	s_nop 2
	flat_store_dword v[8:9], v12 offset:32
	flat_load_dword v12, v[4:5] offset:4
	s_nop 0
	flat_load_dword v24, v[6:7] offset:4
	s_waitcnt vmcnt(0) lgkmcnt(0)
	v_dot4c_i32_i8_e32 v13, v12, v24
	s_nop 2
	flat_store_dword v[8:9], v13 offset:36
	flat_load_dword v12, v[4:5] offset:4
	s_nop 0
	flat_load_dword v13, v[6:7] offset:8
	s_waitcnt vmcnt(0) lgkmcnt(0)
	v_dot4c_i32_i8_e32 v14, v12, v13
	s_nop 2
	flat_store_dword v[8:9], v14 offset:40
	flat_load_dword v12, v[4:5] offset:4
	flat_load_dword v13, v[6:7] offset:12
	s_waitcnt vmcnt(0) lgkmcnt(0)
	v_dot4c_i32_i8_e32 v15, v12, v13
	s_nop 2
	flat_store_dword v[8:9], v15 offset:44
	flat_load_dword v24, v[4:5] offset:8
	flat_load_dword v25, v[6:7]
	s_nop 0
	flat_load_dwordx4 v[12:15], v[8:9] offset:64
	s_waitcnt vmcnt(0) lgkmcnt(0)
	v_dot4c_i32_i8_e32 v12, v24, v25
	s_nop 2
	flat_store_dword v[8:9], v12 offset:64
	flat_load_dword v12, v[4:5] offset:8
	s_nop 0
	flat_load_dword v24, v[6:7] offset:4
	s_waitcnt vmcnt(0) lgkmcnt(0)
	v_dot4c_i32_i8_e32 v13, v12, v24
	s_nop 2
	flat_store_dword v[8:9], v13 offset:68
	flat_load_dword v12, v[4:5] offset:8
	s_nop 0
	flat_load_dword v13, v[6:7] offset:8
	s_waitcnt vmcnt(0) lgkmcnt(0)
	v_dot4c_i32_i8_e32 v14, v12, v13
	s_nop 2
	flat_store_dword v[8:9], v14 offset:72
	flat_load_dword v12, v[4:5] offset:8
	flat_load_dword v13, v[6:7] offset:12
	flat_load_dwordx4 v[24:27], v[8:9] offset:96
	s_waitcnt vmcnt(0) lgkmcnt(0)
	v_dot4c_i32_i8_e32 v15, v12, v13
	s_nop 2
	flat_store_dword v[8:9], v15 offset:76
	flat_load_dword v12, v[4:5] offset:12
	flat_load_dword v13, v[6:7]
	s_waitcnt vmcnt(0) lgkmcnt(0)
	v_dot4c_i32_i8_e32 v24, v12, v13
	s_nop 2
	flat_store_dword v[8:9], v24 offset:96
	flat_load_dword v12, v[4:5] offset:12
	flat_load_dword v13, v[6:7] offset:4
	s_waitcnt vmcnt(0) lgkmcnt(0)
	v_dot4c_i32_i8_e32 v25, v12, v13
	s_nop 2
	flat_store_dword v[8:9], v25 offset:100
	flat_load_dword v12, v[4:5] offset:12
	flat_load_dword v13, v[6:7] offset:8
	;; [unrolled: 6-line block ×3, first 2 shown]
	s_waitcnt vmcnt(0) lgkmcnt(0)
	v_dot4c_i32_i8_e32 v27, v12, v13
	s_nop 2
	flat_store_dword v[8:9], v27 offset:108
	flat_load_dword v12, v[4:5]
	flat_load_dword v13, v[6:7] offset:16
	s_waitcnt vmcnt(0) lgkmcnt(0)
	v_dot4c_i32_i8_e32 v16, v12, v13
	s_nop 2
	flat_store_dword v[8:9], v16 offset:16
	flat_load_dword v12, v[4:5]
	flat_load_dword v13, v[6:7] offset:20
	;; [unrolled: 6-line block ×4, first 2 shown]
	s_waitcnt vmcnt(0) lgkmcnt(0)
	v_dot4c_i32_i8_e32 v19, v12, v13
	s_nop 2
	flat_store_dword v[8:9], v19 offset:28
	flat_load_dword v12, v[4:5] offset:4
	flat_load_dword v13, v[6:7] offset:16
	s_waitcnt vmcnt(0) lgkmcnt(0)
	v_dot4c_i32_i8_e32 v20, v12, v13
	s_nop 2
	flat_store_dword v[8:9], v20 offset:48
	flat_load_dword v12, v[4:5] offset:4
	flat_load_dword v13, v[6:7] offset:20
	s_waitcnt vmcnt(0) lgkmcnt(0)
	v_dot4c_i32_i8_e32 v21, v12, v13
	s_nop 2
	flat_store_dword v[8:9], v21 offset:52
	flat_load_dword v12, v[4:5] offset:4
	flat_load_dword v13, v[6:7] offset:24
	s_waitcnt vmcnt(0) lgkmcnt(0)
	v_dot4c_i32_i8_e32 v22, v12, v13
	s_nop 2
	flat_store_dword v[8:9], v22 offset:56
	flat_load_dword v16, v[4:5] offset:4
	flat_load_dword v17, v[6:7] offset:28
	flat_load_dwordx4 v[12:15], v[8:9] offset:80
	s_waitcnt vmcnt(0) lgkmcnt(0)
	v_dot4c_i32_i8_e32 v23, v16, v17
	s_nop 2
	flat_store_dword v[8:9], v23 offset:60
	flat_load_dword v16, v[4:5] offset:8
	flat_load_dword v17, v[6:7] offset:16
	s_waitcnt vmcnt(0) lgkmcnt(0)
	v_dot4c_i32_i8_e32 v12, v16, v17
	s_nop 2
	flat_store_dword v[8:9], v12 offset:80
	flat_load_dword v12, v[4:5] offset:8
	s_nop 0
	flat_load_dword v16, v[6:7] offset:20
	s_waitcnt vmcnt(0) lgkmcnt(0)
	v_dot4c_i32_i8_e32 v13, v12, v16
	s_nop 2
	flat_store_dword v[8:9], v13 offset:84
	flat_load_dword v12, v[4:5] offset:8
	s_nop 0
	flat_load_dword v13, v[6:7] offset:24
	s_waitcnt vmcnt(0) lgkmcnt(0)
	v_dot4c_i32_i8_e32 v14, v12, v13
	s_nop 2
	flat_store_dword v[8:9], v14 offset:88
	flat_load_dword v12, v[4:5] offset:8
	flat_load_dword v13, v[6:7] offset:28
	flat_load_dwordx4 v[16:19], v[8:9] offset:112
	s_waitcnt vmcnt(0) lgkmcnt(0)
	v_dot4c_i32_i8_e32 v15, v12, v13
	s_nop 2
	flat_store_dword v[8:9], v15 offset:92
	flat_load_dword v12, v[4:5] offset:12
	flat_load_dword v13, v[6:7] offset:16
	s_waitcnt vmcnt(0) lgkmcnt(0)
	v_dot4c_i32_i8_e32 v16, v12, v13
	s_nop 2
	flat_store_dword v[8:9], v16 offset:112
	flat_load_dword v12, v[4:5] offset:12
	flat_load_dword v13, v[6:7] offset:20
	;; [unrolled: 6-line block ×4, first 2 shown]
	s_waitcnt vmcnt(0) lgkmcnt(0)
	v_dot4c_i32_i8_e32 v19, v12, v13
	s_nop 2
	flat_store_dword v[8:9], v19 offset:124
	flat_load_dword v12, v[0:1] offset:16
	flat_load_dwordx2 v[14:15], v[2:3]
	s_waitcnt vmcnt(0) lgkmcnt(0)
	v_ashrrev_i32_e32 v13, 31, v12
	v_lshl_add_u64 v[16:17], v[14:15], 0, v[12:13]
	flat_load_dwordx4 v[12:15], v[16:17] offset:2560
	flat_load_dword v20, v[4:5] offset:16
	s_waitcnt vmcnt(0) lgkmcnt(0)
	flat_store_dwordx4 v[4:5], v[12:15]
	flat_load_dword v21, v[6:7]
	s_nop 0
	flat_load_dwordx4 v[12:15], v[8:9] offset:128
	flat_load_dwordx4 v[16:19], v[8:9] offset:160
	s_waitcnt vmcnt(0) lgkmcnt(0)
	v_dot4c_i32_i8_e32 v12, v20, v21
	s_nop 2
	flat_store_dword v[8:9], v12 offset:128
	flat_load_dword v12, v[4:5] offset:16
	s_nop 0
	flat_load_dword v20, v[6:7] offset:4
	s_waitcnt vmcnt(0) lgkmcnt(0)
	v_dot4c_i32_i8_e32 v13, v12, v20
	s_nop 2
	flat_store_dword v[8:9], v13 offset:132
	flat_load_dword v12, v[4:5] offset:16
	s_nop 0
	flat_load_dword v13, v[6:7] offset:8
	s_waitcnt vmcnt(0) lgkmcnt(0)
	v_dot4c_i32_i8_e32 v14, v12, v13
	s_nop 2
	flat_store_dword v[8:9], v14 offset:136
	flat_load_dword v12, v[4:5] offset:16
	flat_load_dword v13, v[6:7] offset:12
	s_waitcnt vmcnt(0) lgkmcnt(0)
	v_dot4c_i32_i8_e32 v15, v12, v13
	s_nop 2
	flat_store_dword v[8:9], v15 offset:140
	flat_load_dword v12, v[4:5] offset:20
	flat_load_dword v13, v[6:7]
	s_waitcnt vmcnt(0) lgkmcnt(0)
	v_dot4c_i32_i8_e32 v16, v12, v13
	s_nop 2
	flat_store_dword v[8:9], v16 offset:160
	flat_load_dword v12, v[4:5] offset:20
	flat_load_dword v13, v[6:7] offset:4
	s_waitcnt vmcnt(0) lgkmcnt(0)
	v_dot4c_i32_i8_e32 v17, v12, v13
	s_nop 2
	flat_store_dword v[8:9], v17 offset:164
	flat_load_dword v12, v[4:5] offset:20
	flat_load_dword v13, v[6:7] offset:8
	;; [unrolled: 6-line block ×3, first 2 shown]
	s_waitcnt vmcnt(0) lgkmcnt(0)
	v_dot4c_i32_i8_e32 v19, v12, v13
	s_nop 2
	flat_store_dword v[8:9], v19 offset:172
	flat_load_dword v20, v[4:5] offset:24
	flat_load_dword v21, v[6:7]
	flat_load_dwordx4 v[12:15], v[8:9] offset:192
	s_nop 0
	flat_load_dwordx4 v[16:19], v[8:9] offset:224
	s_waitcnt vmcnt(0) lgkmcnt(0)
	v_dot4c_i32_i8_e32 v12, v20, v21
	s_nop 2
	flat_store_dword v[8:9], v12 offset:192
	flat_load_dword v12, v[4:5] offset:24
	s_nop 0
	flat_load_dword v20, v[6:7] offset:4
	s_waitcnt vmcnt(0) lgkmcnt(0)
	v_dot4c_i32_i8_e32 v13, v12, v20
	s_nop 2
	flat_store_dword v[8:9], v13 offset:196
	flat_load_dword v12, v[4:5] offset:24
	s_nop 0
	flat_load_dword v13, v[6:7] offset:8
	s_waitcnt vmcnt(0) lgkmcnt(0)
	v_dot4c_i32_i8_e32 v14, v12, v13
	s_nop 2
	flat_store_dword v[8:9], v14 offset:200
	flat_load_dword v12, v[4:5] offset:24
	flat_load_dword v13, v[6:7] offset:12
	s_waitcnt vmcnt(0) lgkmcnt(0)
	v_dot4c_i32_i8_e32 v15, v12, v13
	s_nop 2
	flat_store_dword v[8:9], v15 offset:204
	flat_load_dword v12, v[4:5] offset:28
	flat_load_dword v13, v[6:7]
	s_waitcnt vmcnt(0) lgkmcnt(0)
	v_dot4c_i32_i8_e32 v16, v12, v13
	s_nop 2
	flat_store_dword v[8:9], v16 offset:224
	flat_load_dword v12, v[4:5] offset:28
	flat_load_dword v13, v[6:7] offset:4
	s_waitcnt vmcnt(0) lgkmcnt(0)
	v_dot4c_i32_i8_e32 v17, v12, v13
	s_nop 2
	flat_store_dword v[8:9], v17 offset:228
	flat_load_dword v12, v[4:5] offset:28
	flat_load_dword v13, v[6:7] offset:8
	;; [unrolled: 6-line block ×3, first 2 shown]
	s_waitcnt vmcnt(0) lgkmcnt(0)
	v_dot4c_i32_i8_e32 v19, v12, v13
	s_nop 2
	flat_store_dword v[8:9], v19 offset:236
	flat_load_dword v12, v[0:1] offset:48
	flat_load_dwordx2 v[14:15], v[10:11]
	s_waitcnt vmcnt(0) lgkmcnt(0)
	v_ashrrev_i32_e32 v13, 31, v12
	v_lshl_add_u64 v[16:17], v[14:15], 0, v[12:13]
	flat_load_dwordx4 v[12:15], v[16:17] offset:2560
	flat_load_dword v20, v[6:7] offset:16
	s_waitcnt vmcnt(0) lgkmcnt(0)
	flat_store_dwordx4 v[6:7], v[12:15]
	flat_load_dword v21, v[4:5] offset:16
	s_nop 0
	flat_load_dwordx4 v[12:15], v[8:9] offset:144
	flat_load_dwordx4 v[16:19], v[8:9] offset:176
	s_waitcnt vmcnt(0) lgkmcnt(0)
	v_dot4c_i32_i8_e32 v12, v21, v20
	s_nop 2
	flat_store_dword v[8:9], v12 offset:144
	flat_load_dword v12, v[4:5] offset:16
	s_nop 0
	flat_load_dword v20, v[6:7] offset:20
	s_waitcnt vmcnt(0) lgkmcnt(0)
	v_dot4c_i32_i8_e32 v13, v12, v20
	s_nop 2
	flat_store_dword v[8:9], v13 offset:148
	flat_load_dword v12, v[4:5] offset:16
	s_nop 0
	flat_load_dword v13, v[6:7] offset:24
	s_waitcnt vmcnt(0) lgkmcnt(0)
	v_dot4c_i32_i8_e32 v14, v12, v13
	s_nop 2
	flat_store_dword v[8:9], v14 offset:152
	flat_load_dword v12, v[4:5] offset:16
	flat_load_dword v13, v[6:7] offset:28
	s_waitcnt vmcnt(0) lgkmcnt(0)
	v_dot4c_i32_i8_e32 v15, v12, v13
	s_nop 2
	flat_store_dword v[8:9], v15 offset:156
	flat_load_dword v12, v[4:5] offset:20
	;; [unrolled: 6-line block ×6, first 2 shown]
	flat_load_dword v21, v[6:7] offset:16
	flat_load_dwordx4 v[12:15], v[8:9] offset:208
	s_nop 0
	flat_load_dwordx4 v[16:19], v[8:9] offset:240
	s_waitcnt vmcnt(0) lgkmcnt(0)
	v_dot4c_i32_i8_e32 v12, v20, v21
	s_nop 2
	flat_store_dword v[8:9], v12 offset:208
	flat_load_dword v12, v[4:5] offset:24
	s_nop 0
	flat_load_dword v20, v[6:7] offset:20
	s_waitcnt vmcnt(0) lgkmcnt(0)
	v_dot4c_i32_i8_e32 v13, v12, v20
	s_nop 2
	flat_store_dword v[8:9], v13 offset:212
	flat_load_dword v12, v[4:5] offset:24
	s_nop 0
	flat_load_dword v13, v[6:7] offset:24
	s_waitcnt vmcnt(0) lgkmcnt(0)
	v_dot4c_i32_i8_e32 v14, v12, v13
	s_nop 2
	flat_store_dword v[8:9], v14 offset:216
	flat_load_dword v12, v[4:5] offset:24
	flat_load_dword v13, v[6:7] offset:28
	s_waitcnt vmcnt(0) lgkmcnt(0)
	v_dot4c_i32_i8_e32 v15, v12, v13
	s_nop 2
	flat_store_dword v[8:9], v15 offset:220
	flat_load_dword v12, v[4:5] offset:28
	;; [unrolled: 6-line block ×6, first 2 shown]
	flat_load_dwordx2 v[14:15], v[10:11]
	s_waitcnt vmcnt(0) lgkmcnt(0)
	v_ashrrev_i32_e32 v13, 31, v12
	v_lshl_add_u64 v[12:13], v[14:15], 0, v[12:13]
	flat_load_dwordx4 v[12:15], v[12:13] offset:2816
	s_waitcnt vmcnt(0) lgkmcnt(0)
	flat_store_dwordx4 v[6:7], v[12:15] offset:16
	flat_load_dword v12, v[0:1] offset:16
	s_nop 0
	flat_load_dwordx2 v[14:15], v[2:3]
	s_waitcnt vmcnt(0) lgkmcnt(0)
	v_ashrrev_i32_e32 v13, 31, v12
	v_lshl_add_u64 v[16:17], v[14:15], 0, v[12:13]
	flat_load_dwordx4 v[12:15], v[16:17] offset:2816
	flat_load_dword v20, v[4:5]
	s_waitcnt vmcnt(0) lgkmcnt(0)
	flat_store_dwordx4 v[4:5], v[12:15] offset:16
	flat_load_dword v21, v[6:7]
	flat_load_dwordx4 v[16:19], v[8:9]
	s_nop 0
	flat_load_dwordx4 v[12:15], v[8:9] offset:16
	s_waitcnt vmcnt(0) lgkmcnt(0)
	v_dot4c_i32_i8_e32 v16, v20, v21
	s_nop 2
	flat_store_dword v[8:9], v16
	flat_load_dword v16, v[4:5]
	s_nop 0
	flat_load_dword v20, v[6:7] offset:4
	s_waitcnt vmcnt(0) lgkmcnt(0)
	v_dot4c_i32_i8_e32 v17, v16, v20
	s_nop 2
	flat_store_dword v[8:9], v17 offset:4
	flat_load_dword v16, v[4:5]
	s_nop 0
	flat_load_dword v17, v[6:7] offset:8
	s_waitcnt vmcnt(0) lgkmcnt(0)
	v_dot4c_i32_i8_e32 v18, v16, v17
	s_nop 2
	flat_store_dword v[8:9], v18 offset:8
	flat_load_dword v16, v[4:5]
	flat_load_dword v17, v[6:7] offset:12
	s_waitcnt vmcnt(0) lgkmcnt(0)
	v_dot4c_i32_i8_e32 v19, v16, v17
	s_nop 2
	flat_store_dword v[8:9], v19 offset:12
	flat_load_dword v24, v[4:5] offset:4
	flat_load_dword v25, v[6:7]
	s_nop 0
	flat_load_dwordx4 v[16:19], v[8:9] offset:32
	flat_load_dwordx4 v[20:23], v[8:9] offset:48
	s_waitcnt vmcnt(0) lgkmcnt(0)
	v_dot4c_i32_i8_e32 v16, v24, v25
	s_nop 2
	flat_store_dword v[8:9], v16 offset:32
	flat_load_dword v16, v[4:5] offset:4
	s_nop 0
	flat_load_dword v24, v[6:7] offset:4
	s_waitcnt vmcnt(0) lgkmcnt(0)
	v_dot4c_i32_i8_e32 v17, v16, v24
	s_nop 2
	flat_store_dword v[8:9], v17 offset:36
	flat_load_dword v16, v[4:5] offset:4
	s_nop 0
	flat_load_dword v17, v[6:7] offset:8
	s_waitcnt vmcnt(0) lgkmcnt(0)
	v_dot4c_i32_i8_e32 v18, v16, v17
	s_nop 2
	flat_store_dword v[8:9], v18 offset:40
	flat_load_dword v16, v[4:5] offset:4
	flat_load_dword v17, v[6:7] offset:12
	s_waitcnt vmcnt(0) lgkmcnt(0)
	v_dot4c_i32_i8_e32 v19, v16, v17
	s_nop 2
	flat_store_dword v[8:9], v19 offset:44
	flat_load_dword v28, v[4:5] offset:8
	flat_load_dword v29, v[6:7]
	s_nop 0
	flat_load_dwordx4 v[16:19], v[8:9] offset:64
	flat_load_dwordx4 v[24:27], v[8:9] offset:80
	s_waitcnt vmcnt(0) lgkmcnt(0)
	v_dot4c_i32_i8_e32 v16, v28, v29
	s_nop 2
	flat_store_dword v[8:9], v16 offset:64
	flat_load_dword v16, v[4:5] offset:8
	s_nop 0
	flat_load_dword v28, v[6:7] offset:4
	s_waitcnt vmcnt(0) lgkmcnt(0)
	v_dot4c_i32_i8_e32 v17, v16, v28
	s_nop 2
	flat_store_dword v[8:9], v17 offset:68
	flat_load_dword v16, v[4:5] offset:8
	s_nop 0
	flat_load_dword v17, v[6:7] offset:8
	s_waitcnt vmcnt(0) lgkmcnt(0)
	v_dot4c_i32_i8_e32 v18, v16, v17
	s_nop 2
	flat_store_dword v[8:9], v18 offset:72
	flat_load_dword v16, v[4:5] offset:8
	;; [unrolled: 29-line block ×3, first 2 shown]
	flat_load_dword v17, v[6:7] offset:12
	s_waitcnt vmcnt(0) lgkmcnt(0)
	v_dot4c_i32_i8_e32 v19, v16, v17
	s_nop 2
	flat_store_dword v[8:9], v19 offset:108
	flat_load_dword v16, v[4:5]
	flat_load_dword v17, v[6:7] offset:16
	s_waitcnt vmcnt(0) lgkmcnt(0)
	v_dot4c_i32_i8_e32 v12, v16, v17
	s_nop 2
	flat_store_dword v[8:9], v12 offset:16
	flat_load_dword v12, v[4:5]
	s_nop 0
	flat_load_dword v16, v[6:7] offset:20
	s_waitcnt vmcnt(0) lgkmcnt(0)
	v_dot4c_i32_i8_e32 v13, v12, v16
	s_nop 2
	flat_store_dword v[8:9], v13 offset:20
	flat_load_dword v12, v[4:5]
	s_nop 0
	flat_load_dword v13, v[6:7] offset:24
	s_waitcnt vmcnt(0) lgkmcnt(0)
	v_dot4c_i32_i8_e32 v14, v12, v13
	s_nop 2
	flat_store_dword v[8:9], v14 offset:24
	flat_load_dword v12, v[4:5]
	flat_load_dword v13, v[6:7] offset:28
	s_waitcnt vmcnt(0) lgkmcnt(0)
	v_dot4c_i32_i8_e32 v15, v12, v13
	s_nop 2
	flat_store_dword v[8:9], v15 offset:28
	flat_load_dword v12, v[4:5] offset:4
	flat_load_dword v13, v[6:7] offset:16
	s_waitcnt vmcnt(0) lgkmcnt(0)
	v_dot4c_i32_i8_e32 v20, v12, v13
	s_nop 2
	flat_store_dword v[8:9], v20 offset:48
	flat_load_dword v12, v[4:5] offset:4
	;; [unrolled: 6-line block ×13, first 2 shown]
	flat_load_dwordx2 v[14:15], v[2:3]
	s_waitcnt vmcnt(0) lgkmcnt(0)
	v_ashrrev_i32_e32 v13, 31, v12
	v_lshl_add_u64 v[16:17], v[14:15], 0, v[12:13]
	flat_load_dwordx4 v[12:15], v[16:17] offset:3072
	flat_load_dword v20, v[4:5] offset:16
	s_waitcnt vmcnt(0) lgkmcnt(0)
	flat_store_dwordx4 v[4:5], v[12:15]
	flat_load_dword v21, v[6:7]
	s_nop 0
	flat_load_dwordx4 v[12:15], v[8:9] offset:128
	flat_load_dwordx4 v[16:19], v[8:9] offset:160
	s_waitcnt vmcnt(0) lgkmcnt(0)
	v_dot4c_i32_i8_e32 v12, v20, v21
	s_nop 2
	flat_store_dword v[8:9], v12 offset:128
	flat_load_dword v12, v[4:5] offset:16
	s_nop 0
	flat_load_dword v20, v[6:7] offset:4
	s_waitcnt vmcnt(0) lgkmcnt(0)
	v_dot4c_i32_i8_e32 v13, v12, v20
	s_nop 2
	flat_store_dword v[8:9], v13 offset:132
	flat_load_dword v12, v[4:5] offset:16
	s_nop 0
	flat_load_dword v13, v[6:7] offset:8
	s_waitcnt vmcnt(0) lgkmcnt(0)
	v_dot4c_i32_i8_e32 v14, v12, v13
	s_nop 2
	flat_store_dword v[8:9], v14 offset:136
	flat_load_dword v12, v[4:5] offset:16
	flat_load_dword v13, v[6:7] offset:12
	s_waitcnt vmcnt(0) lgkmcnt(0)
	v_dot4c_i32_i8_e32 v15, v12, v13
	s_nop 2
	flat_store_dword v[8:9], v15 offset:140
	flat_load_dword v12, v[4:5] offset:20
	flat_load_dword v13, v[6:7]
	s_waitcnt vmcnt(0) lgkmcnt(0)
	v_dot4c_i32_i8_e32 v16, v12, v13
	s_nop 2
	flat_store_dword v[8:9], v16 offset:160
	flat_load_dword v12, v[4:5] offset:20
	flat_load_dword v13, v[6:7] offset:4
	s_waitcnt vmcnt(0) lgkmcnt(0)
	v_dot4c_i32_i8_e32 v17, v12, v13
	s_nop 2
	flat_store_dword v[8:9], v17 offset:164
	flat_load_dword v12, v[4:5] offset:20
	flat_load_dword v13, v[6:7] offset:8
	;; [unrolled: 6-line block ×3, first 2 shown]
	s_waitcnt vmcnt(0) lgkmcnt(0)
	v_dot4c_i32_i8_e32 v19, v12, v13
	s_nop 2
	flat_store_dword v[8:9], v19 offset:172
	flat_load_dword v20, v[4:5] offset:24
	flat_load_dword v21, v[6:7]
	flat_load_dwordx4 v[12:15], v[8:9] offset:192
	s_nop 0
	flat_load_dwordx4 v[16:19], v[8:9] offset:224
	s_waitcnt vmcnt(0) lgkmcnt(0)
	v_dot4c_i32_i8_e32 v12, v20, v21
	s_nop 2
	flat_store_dword v[8:9], v12 offset:192
	flat_load_dword v12, v[4:5] offset:24
	s_nop 0
	flat_load_dword v20, v[6:7] offset:4
	s_waitcnt vmcnt(0) lgkmcnt(0)
	v_dot4c_i32_i8_e32 v13, v12, v20
	s_nop 2
	flat_store_dword v[8:9], v13 offset:196
	flat_load_dword v12, v[4:5] offset:24
	s_nop 0
	flat_load_dword v13, v[6:7] offset:8
	s_waitcnt vmcnt(0) lgkmcnt(0)
	v_dot4c_i32_i8_e32 v14, v12, v13
	s_nop 2
	flat_store_dword v[8:9], v14 offset:200
	flat_load_dword v12, v[4:5] offset:24
	flat_load_dword v13, v[6:7] offset:12
	s_waitcnt vmcnt(0) lgkmcnt(0)
	v_dot4c_i32_i8_e32 v15, v12, v13
	s_nop 2
	flat_store_dword v[8:9], v15 offset:204
	flat_load_dword v12, v[4:5] offset:28
	flat_load_dword v13, v[6:7]
	s_waitcnt vmcnt(0) lgkmcnt(0)
	v_dot4c_i32_i8_e32 v16, v12, v13
	s_nop 2
	flat_store_dword v[8:9], v16 offset:224
	flat_load_dword v12, v[4:5] offset:28
	flat_load_dword v13, v[6:7] offset:4
	s_waitcnt vmcnt(0) lgkmcnt(0)
	v_dot4c_i32_i8_e32 v17, v12, v13
	s_nop 2
	flat_store_dword v[8:9], v17 offset:228
	flat_load_dword v12, v[4:5] offset:28
	flat_load_dword v13, v[6:7] offset:8
	;; [unrolled: 6-line block ×3, first 2 shown]
	s_waitcnt vmcnt(0) lgkmcnt(0)
	v_dot4c_i32_i8_e32 v19, v12, v13
	s_nop 2
	flat_store_dword v[8:9], v19 offset:236
	flat_load_dword v12, v[0:1] offset:48
	flat_load_dwordx2 v[14:15], v[10:11]
	s_waitcnt vmcnt(0) lgkmcnt(0)
	v_ashrrev_i32_e32 v13, 31, v12
	v_lshl_add_u64 v[16:17], v[14:15], 0, v[12:13]
	flat_load_dwordx4 v[12:15], v[16:17] offset:3072
	flat_load_dword v20, v[6:7] offset:16
	s_waitcnt vmcnt(0) lgkmcnt(0)
	flat_store_dwordx4 v[6:7], v[12:15]
	flat_load_dword v21, v[4:5] offset:16
	s_nop 0
	flat_load_dwordx4 v[12:15], v[8:9] offset:144
	flat_load_dwordx4 v[16:19], v[8:9] offset:176
	s_waitcnt vmcnt(0) lgkmcnt(0)
	v_dot4c_i32_i8_e32 v12, v21, v20
	s_nop 2
	flat_store_dword v[8:9], v12 offset:144
	flat_load_dword v12, v[4:5] offset:16
	s_nop 0
	flat_load_dword v20, v[6:7] offset:20
	s_waitcnt vmcnt(0) lgkmcnt(0)
	v_dot4c_i32_i8_e32 v13, v12, v20
	s_nop 2
	flat_store_dword v[8:9], v13 offset:148
	flat_load_dword v12, v[4:5] offset:16
	s_nop 0
	flat_load_dword v13, v[6:7] offset:24
	s_waitcnt vmcnt(0) lgkmcnt(0)
	v_dot4c_i32_i8_e32 v14, v12, v13
	s_nop 2
	flat_store_dword v[8:9], v14 offset:152
	flat_load_dword v12, v[4:5] offset:16
	flat_load_dword v13, v[6:7] offset:28
	s_waitcnt vmcnt(0) lgkmcnt(0)
	v_dot4c_i32_i8_e32 v15, v12, v13
	s_nop 2
	flat_store_dword v[8:9], v15 offset:156
	flat_load_dword v12, v[4:5] offset:20
	;; [unrolled: 6-line block ×6, first 2 shown]
	flat_load_dword v21, v[6:7] offset:16
	flat_load_dwordx4 v[12:15], v[8:9] offset:208
	s_nop 0
	flat_load_dwordx4 v[16:19], v[8:9] offset:240
	s_waitcnt vmcnt(0) lgkmcnt(0)
	v_dot4c_i32_i8_e32 v12, v20, v21
	s_nop 2
	flat_store_dword v[8:9], v12 offset:208
	flat_load_dword v12, v[4:5] offset:24
	s_nop 0
	flat_load_dword v20, v[6:7] offset:20
	s_waitcnt vmcnt(0) lgkmcnt(0)
	v_dot4c_i32_i8_e32 v13, v12, v20
	s_nop 2
	flat_store_dword v[8:9], v13 offset:212
	flat_load_dword v12, v[4:5] offset:24
	s_nop 0
	flat_load_dword v13, v[6:7] offset:24
	s_waitcnt vmcnt(0) lgkmcnt(0)
	v_dot4c_i32_i8_e32 v14, v12, v13
	s_nop 2
	flat_store_dword v[8:9], v14 offset:216
	flat_load_dword v12, v[4:5] offset:24
	flat_load_dword v13, v[6:7] offset:28
	s_waitcnt vmcnt(0) lgkmcnt(0)
	v_dot4c_i32_i8_e32 v15, v12, v13
	s_nop 2
	flat_store_dword v[8:9], v15 offset:220
	flat_load_dword v12, v[4:5] offset:28
	;; [unrolled: 6-line block ×6, first 2 shown]
	flat_load_dwordx2 v[14:15], v[10:11]
	s_waitcnt vmcnt(0) lgkmcnt(0)
	v_ashrrev_i32_e32 v13, 31, v12
	v_lshl_add_u64 v[12:13], v[14:15], 0, v[12:13]
	flat_load_dwordx4 v[12:15], v[12:13] offset:3328
	s_waitcnt vmcnt(0) lgkmcnt(0)
	flat_store_dwordx4 v[6:7], v[12:15] offset:16
	flat_load_dword v12, v[0:1] offset:16
	s_nop 0
	flat_load_dwordx2 v[14:15], v[2:3]
	s_waitcnt vmcnt(0) lgkmcnt(0)
	v_ashrrev_i32_e32 v13, 31, v12
	v_lshl_add_u64 v[16:17], v[14:15], 0, v[12:13]
	flat_load_dwordx4 v[12:15], v[16:17] offset:3328
	flat_load_dword v20, v[4:5]
	s_waitcnt vmcnt(0) lgkmcnt(0)
	flat_store_dwordx4 v[4:5], v[12:15] offset:16
	flat_load_dword v21, v[6:7]
	flat_load_dwordx4 v[16:19], v[8:9]
	s_nop 0
	flat_load_dwordx4 v[12:15], v[8:9] offset:16
	s_waitcnt vmcnt(0) lgkmcnt(0)
	v_dot4c_i32_i8_e32 v16, v20, v21
	s_nop 2
	flat_store_dword v[8:9], v16
	flat_load_dword v16, v[4:5]
	s_nop 0
	flat_load_dword v20, v[6:7] offset:4
	s_waitcnt vmcnt(0) lgkmcnt(0)
	v_dot4c_i32_i8_e32 v17, v16, v20
	s_nop 2
	flat_store_dword v[8:9], v17 offset:4
	flat_load_dword v16, v[4:5]
	s_nop 0
	flat_load_dword v17, v[6:7] offset:8
	s_waitcnt vmcnt(0) lgkmcnt(0)
	v_dot4c_i32_i8_e32 v18, v16, v17
	s_nop 2
	flat_store_dword v[8:9], v18 offset:8
	flat_load_dword v16, v[4:5]
	flat_load_dword v17, v[6:7] offset:12
	s_waitcnt vmcnt(0) lgkmcnt(0)
	v_dot4c_i32_i8_e32 v19, v16, v17
	s_nop 2
	flat_store_dword v[8:9], v19 offset:12
	flat_load_dword v24, v[4:5] offset:4
	flat_load_dword v25, v[6:7]
	s_nop 0
	flat_load_dwordx4 v[16:19], v[8:9] offset:32
	flat_load_dwordx4 v[20:23], v[8:9] offset:48
	s_waitcnt vmcnt(0) lgkmcnt(0)
	v_dot4c_i32_i8_e32 v16, v24, v25
	s_nop 2
	flat_store_dword v[8:9], v16 offset:32
	flat_load_dword v16, v[4:5] offset:4
	s_nop 0
	flat_load_dword v24, v[6:7] offset:4
	s_waitcnt vmcnt(0) lgkmcnt(0)
	v_dot4c_i32_i8_e32 v17, v16, v24
	s_nop 2
	flat_store_dword v[8:9], v17 offset:36
	flat_load_dword v16, v[4:5] offset:4
	s_nop 0
	flat_load_dword v17, v[6:7] offset:8
	s_waitcnt vmcnt(0) lgkmcnt(0)
	v_dot4c_i32_i8_e32 v18, v16, v17
	s_nop 2
	flat_store_dword v[8:9], v18 offset:40
	flat_load_dword v16, v[4:5] offset:4
	flat_load_dword v17, v[6:7] offset:12
	s_waitcnt vmcnt(0) lgkmcnt(0)
	v_dot4c_i32_i8_e32 v19, v16, v17
	s_nop 2
	flat_store_dword v[8:9], v19 offset:44
	flat_load_dword v28, v[4:5] offset:8
	flat_load_dword v29, v[6:7]
	s_nop 0
	flat_load_dwordx4 v[16:19], v[8:9] offset:64
	flat_load_dwordx4 v[24:27], v[8:9] offset:80
	s_waitcnt vmcnt(0) lgkmcnt(0)
	v_dot4c_i32_i8_e32 v16, v28, v29
	s_nop 2
	flat_store_dword v[8:9], v16 offset:64
	flat_load_dword v16, v[4:5] offset:8
	s_nop 0
	flat_load_dword v28, v[6:7] offset:4
	s_waitcnt vmcnt(0) lgkmcnt(0)
	v_dot4c_i32_i8_e32 v17, v16, v28
	s_nop 2
	flat_store_dword v[8:9], v17 offset:68
	flat_load_dword v16, v[4:5] offset:8
	s_nop 0
	flat_load_dword v17, v[6:7] offset:8
	s_waitcnt vmcnt(0) lgkmcnt(0)
	v_dot4c_i32_i8_e32 v18, v16, v17
	s_nop 2
	flat_store_dword v[8:9], v18 offset:72
	flat_load_dword v16, v[4:5] offset:8
	;; [unrolled: 29-line block ×3, first 2 shown]
	flat_load_dword v17, v[6:7] offset:12
	s_waitcnt vmcnt(0) lgkmcnt(0)
	v_dot4c_i32_i8_e32 v19, v16, v17
	s_nop 2
	flat_store_dword v[8:9], v19 offset:108
	flat_load_dword v16, v[4:5]
	flat_load_dword v17, v[6:7] offset:16
	s_waitcnt vmcnt(0) lgkmcnt(0)
	v_dot4c_i32_i8_e32 v12, v16, v17
	s_nop 2
	flat_store_dword v[8:9], v12 offset:16
	flat_load_dword v12, v[4:5]
	s_nop 0
	flat_load_dword v16, v[6:7] offset:20
	s_waitcnt vmcnt(0) lgkmcnt(0)
	v_dot4c_i32_i8_e32 v13, v12, v16
	s_nop 2
	flat_store_dword v[8:9], v13 offset:20
	flat_load_dword v12, v[4:5]
	s_nop 0
	flat_load_dword v13, v[6:7] offset:24
	s_waitcnt vmcnt(0) lgkmcnt(0)
	v_dot4c_i32_i8_e32 v14, v12, v13
	s_nop 2
	flat_store_dword v[8:9], v14 offset:24
	flat_load_dword v12, v[4:5]
	flat_load_dword v13, v[6:7] offset:28
	s_waitcnt vmcnt(0) lgkmcnt(0)
	v_dot4c_i32_i8_e32 v15, v12, v13
	s_nop 2
	flat_store_dword v[8:9], v15 offset:28
	flat_load_dword v12, v[4:5] offset:4
	flat_load_dword v13, v[6:7] offset:16
	s_waitcnt vmcnt(0) lgkmcnt(0)
	v_dot4c_i32_i8_e32 v20, v12, v13
	s_nop 2
	flat_store_dword v[8:9], v20 offset:48
	flat_load_dword v12, v[4:5] offset:4
	;; [unrolled: 6-line block ×13, first 2 shown]
	flat_load_dwordx2 v[14:15], v[2:3]
	s_waitcnt vmcnt(0) lgkmcnt(0)
	v_ashrrev_i32_e32 v13, 31, v12
	v_lshl_add_u64 v[16:17], v[14:15], 0, v[12:13]
	flat_load_dwordx4 v[12:15], v[16:17] offset:3584
	flat_load_dword v18, v[4:5] offset:16
	s_waitcnt vmcnt(0) lgkmcnt(0)
	flat_store_dwordx4 v[4:5], v[12:15]
	flat_load_dword v16, v[6:7]
	s_nop 0
	flat_load_dwordx4 v[12:15], v[8:9] offset:128
	s_waitcnt vmcnt(0) lgkmcnt(0)
	v_dot4c_i32_i8_e32 v12, v18, v16
	s_nop 2
	flat_store_dword v[8:9], v12 offset:128
	flat_load_dword v12, v[4:5] offset:16
	s_nop 0
	flat_load_dword v16, v[6:7] offset:4
	s_waitcnt vmcnt(0) lgkmcnt(0)
	v_dot4c_i32_i8_e32 v13, v12, v16
	s_nop 2
	flat_store_dword v[8:9], v13 offset:132
	flat_load_dword v12, v[4:5] offset:16
	s_nop 0
	flat_load_dword v13, v[6:7] offset:8
	s_waitcnt vmcnt(0) lgkmcnt(0)
	v_dot4c_i32_i8_e32 v14, v12, v13
	s_nop 2
	flat_store_dword v[8:9], v14 offset:136
	flat_load_dword v12, v[4:5] offset:16
	flat_load_dword v13, v[6:7] offset:12
	s_waitcnt vmcnt(0) lgkmcnt(0)
	v_dot4c_i32_i8_e32 v15, v12, v13
	s_nop 2
	flat_store_dword v[8:9], v15 offset:140
	flat_load_dword v16, v[4:5] offset:20
	flat_load_dword v17, v[6:7]
	s_nop 0
	flat_load_dwordx4 v[12:15], v[8:9] offset:160
	s_waitcnt vmcnt(0) lgkmcnt(0)
	v_dot4c_i32_i8_e32 v12, v16, v17
	s_nop 2
	flat_store_dword v[8:9], v12 offset:160
	flat_load_dword v12, v[4:5] offset:20
	s_nop 0
	flat_load_dword v16, v[6:7] offset:4
	s_waitcnt vmcnt(0) lgkmcnt(0)
	v_dot4c_i32_i8_e32 v13, v12, v16
	s_nop 2
	flat_store_dword v[8:9], v13 offset:164
	flat_load_dword v12, v[4:5] offset:20
	s_nop 0
	flat_load_dword v13, v[6:7] offset:8
	s_waitcnt vmcnt(0) lgkmcnt(0)
	v_dot4c_i32_i8_e32 v14, v12, v13
	s_nop 2
	flat_store_dword v[8:9], v14 offset:168
	flat_load_dword v12, v[4:5] offset:20
	flat_load_dword v13, v[6:7] offset:12
	s_waitcnt vmcnt(0) lgkmcnt(0)
	v_dot4c_i32_i8_e32 v15, v12, v13
	s_nop 2
	flat_store_dword v[8:9], v15 offset:172
	flat_load_dword v20, v[4:5] offset:24
	flat_load_dword v21, v[6:7]
	s_nop 0
	flat_load_dwordx4 v[12:15], v[8:9] offset:192
	flat_load_dwordx4 v[16:19], v[8:9] offset:224
	s_waitcnt vmcnt(0) lgkmcnt(0)
	v_dot4c_i32_i8_e32 v12, v20, v21
	s_nop 2
	flat_store_dword v[8:9], v12 offset:192
	flat_load_dword v12, v[4:5] offset:24
	s_nop 0
	flat_load_dword v20, v[6:7] offset:4
	s_waitcnt vmcnt(0) lgkmcnt(0)
	v_dot4c_i32_i8_e32 v13, v12, v20
	s_nop 2
	flat_store_dword v[8:9], v13 offset:196
	flat_load_dword v12, v[4:5] offset:24
	s_nop 0
	flat_load_dword v13, v[6:7] offset:8
	s_waitcnt vmcnt(0) lgkmcnt(0)
	v_dot4c_i32_i8_e32 v14, v12, v13
	s_nop 2
	flat_store_dword v[8:9], v14 offset:200
	flat_load_dword v12, v[4:5] offset:24
	flat_load_dword v13, v[6:7] offset:12
	s_waitcnt vmcnt(0) lgkmcnt(0)
	v_dot4c_i32_i8_e32 v15, v12, v13
	s_nop 2
	flat_store_dword v[8:9], v15 offset:204
	flat_load_dword v12, v[4:5] offset:28
	flat_load_dword v13, v[6:7]
	s_waitcnt vmcnt(0) lgkmcnt(0)
	v_dot4c_i32_i8_e32 v16, v12, v13
	s_nop 2
	flat_store_dword v[8:9], v16 offset:224
	flat_load_dword v12, v[4:5] offset:28
	flat_load_dword v13, v[6:7] offset:4
	s_waitcnt vmcnt(0) lgkmcnt(0)
	v_dot4c_i32_i8_e32 v17, v12, v13
	s_nop 2
	flat_store_dword v[8:9], v17 offset:228
	flat_load_dword v12, v[4:5] offset:28
	flat_load_dword v13, v[6:7] offset:8
	;; [unrolled: 6-line block ×3, first 2 shown]
	s_waitcnt vmcnt(0) lgkmcnt(0)
	v_dot4c_i32_i8_e32 v19, v12, v13
	s_nop 2
	flat_store_dword v[8:9], v19 offset:236
	flat_load_dword v12, v[0:1] offset:48
	flat_load_dwordx2 v[14:15], v[10:11]
	s_waitcnt vmcnt(0) lgkmcnt(0)
	v_ashrrev_i32_e32 v13, 31, v12
	v_lshl_add_u64 v[16:17], v[14:15], 0, v[12:13]
	flat_load_dwordx4 v[12:15], v[16:17] offset:3584
	flat_load_dword v20, v[6:7] offset:16
	s_waitcnt vmcnt(0) lgkmcnt(0)
	flat_store_dwordx4 v[6:7], v[12:15]
	flat_load_dword v21, v[4:5] offset:16
	s_nop 0
	flat_load_dwordx4 v[12:15], v[8:9] offset:144
	flat_load_dwordx4 v[16:19], v[8:9] offset:176
	s_waitcnt vmcnt(0) lgkmcnt(0)
	v_dot4c_i32_i8_e32 v12, v21, v20
	s_nop 2
	flat_store_dword v[8:9], v12 offset:144
	flat_load_dword v12, v[4:5] offset:16
	s_nop 0
	flat_load_dword v20, v[6:7] offset:20
	s_waitcnt vmcnt(0) lgkmcnt(0)
	v_dot4c_i32_i8_e32 v13, v12, v20
	s_nop 2
	flat_store_dword v[8:9], v13 offset:148
	flat_load_dword v12, v[4:5] offset:16
	s_nop 0
	flat_load_dword v13, v[6:7] offset:24
	s_waitcnt vmcnt(0) lgkmcnt(0)
	v_dot4c_i32_i8_e32 v14, v12, v13
	s_nop 2
	flat_store_dword v[8:9], v14 offset:152
	flat_load_dword v12, v[4:5] offset:16
	flat_load_dword v13, v[6:7] offset:28
	s_waitcnt vmcnt(0) lgkmcnt(0)
	v_dot4c_i32_i8_e32 v15, v12, v13
	s_nop 2
	flat_store_dword v[8:9], v15 offset:156
	flat_load_dword v12, v[4:5] offset:20
	;; [unrolled: 6-line block ×6, first 2 shown]
	flat_load_dword v21, v[6:7] offset:16
	flat_load_dwordx4 v[12:15], v[8:9] offset:208
	s_nop 0
	flat_load_dwordx4 v[16:19], v[8:9] offset:240
	s_waitcnt vmcnt(0) lgkmcnt(0)
	v_dot4c_i32_i8_e32 v12, v20, v21
	s_nop 2
	flat_store_dword v[8:9], v12 offset:208
	flat_load_dword v12, v[4:5] offset:24
	s_nop 0
	flat_load_dword v20, v[6:7] offset:20
	s_waitcnt vmcnt(0) lgkmcnt(0)
	v_dot4c_i32_i8_e32 v13, v12, v20
	s_nop 2
	flat_store_dword v[8:9], v13 offset:212
	flat_load_dword v12, v[4:5] offset:24
	s_nop 0
	flat_load_dword v13, v[6:7] offset:24
	s_waitcnt vmcnt(0) lgkmcnt(0)
	v_dot4c_i32_i8_e32 v14, v12, v13
	s_nop 2
	flat_store_dword v[8:9], v14 offset:216
	flat_load_dword v12, v[4:5] offset:24
	flat_load_dword v13, v[6:7] offset:28
	s_waitcnt vmcnt(0) lgkmcnt(0)
	v_dot4c_i32_i8_e32 v15, v12, v13
	s_nop 2
	flat_store_dword v[8:9], v15 offset:220
	flat_load_dword v12, v[4:5] offset:28
	;; [unrolled: 6-line block ×6, first 2 shown]
	flat_load_dwordx2 v[14:15], v[10:11]
	s_waitcnt vmcnt(0) lgkmcnt(0)
	v_ashrrev_i32_e32 v13, 31, v12
	v_lshl_add_u64 v[12:13], v[14:15], 0, v[12:13]
	flat_load_dwordx4 v[12:15], v[12:13] offset:3840
	s_waitcnt vmcnt(0) lgkmcnt(0)
	flat_store_dwordx4 v[6:7], v[12:15] offset:16
	flat_load_dword v12, v[0:1] offset:16
	s_nop 0
	flat_load_dwordx2 v[14:15], v[2:3]
	s_waitcnt vmcnt(0) lgkmcnt(0)
	v_ashrrev_i32_e32 v13, 31, v12
	v_lshl_add_u64 v[16:17], v[14:15], 0, v[12:13]
	flat_load_dwordx4 v[12:15], v[16:17] offset:3840
	flat_load_dword v20, v[4:5]
	s_waitcnt vmcnt(0) lgkmcnt(0)
	flat_store_dwordx4 v[4:5], v[12:15] offset:16
	flat_load_dword v21, v[6:7]
	flat_load_dwordx4 v[16:19], v[8:9]
	s_nop 0
	flat_load_dwordx4 v[12:15], v[8:9] offset:16
	s_waitcnt vmcnt(0) lgkmcnt(0)
	v_dot4c_i32_i8_e32 v16, v20, v21
	s_nop 2
	flat_store_dword v[8:9], v16
	flat_load_dword v16, v[4:5]
	s_nop 0
	flat_load_dword v20, v[6:7] offset:4
	s_waitcnt vmcnt(0) lgkmcnt(0)
	v_dot4c_i32_i8_e32 v17, v16, v20
	s_nop 2
	flat_store_dword v[8:9], v17 offset:4
	flat_load_dword v16, v[4:5]
	s_nop 0
	flat_load_dword v17, v[6:7] offset:8
	s_waitcnt vmcnt(0) lgkmcnt(0)
	v_dot4c_i32_i8_e32 v18, v16, v17
	s_nop 2
	flat_store_dword v[8:9], v18 offset:8
	flat_load_dword v16, v[4:5]
	flat_load_dword v17, v[6:7] offset:12
	s_waitcnt vmcnt(0) lgkmcnt(0)
	v_dot4c_i32_i8_e32 v19, v16, v17
	s_nop 2
	flat_store_dword v[8:9], v19 offset:12
	flat_load_dword v24, v[4:5] offset:4
	flat_load_dword v25, v[6:7]
	s_nop 0
	flat_load_dwordx4 v[16:19], v[8:9] offset:32
	flat_load_dwordx4 v[20:23], v[8:9] offset:48
	s_waitcnt vmcnt(0) lgkmcnt(0)
	v_dot4c_i32_i8_e32 v16, v24, v25
	s_nop 2
	flat_store_dword v[8:9], v16 offset:32
	flat_load_dword v16, v[4:5] offset:4
	s_nop 0
	flat_load_dword v24, v[6:7] offset:4
	s_waitcnt vmcnt(0) lgkmcnt(0)
	v_dot4c_i32_i8_e32 v17, v16, v24
	s_nop 2
	flat_store_dword v[8:9], v17 offset:36
	flat_load_dword v16, v[4:5] offset:4
	s_nop 0
	flat_load_dword v17, v[6:7] offset:8
	s_waitcnt vmcnt(0) lgkmcnt(0)
	v_dot4c_i32_i8_e32 v18, v16, v17
	s_nop 2
	flat_store_dword v[8:9], v18 offset:40
	flat_load_dword v16, v[4:5] offset:4
	flat_load_dword v17, v[6:7] offset:12
	s_waitcnt vmcnt(0) lgkmcnt(0)
	v_dot4c_i32_i8_e32 v19, v16, v17
	s_nop 2
	flat_store_dword v[8:9], v19 offset:44
	flat_load_dword v28, v[4:5] offset:8
	flat_load_dword v29, v[6:7]
	s_nop 0
	flat_load_dwordx4 v[16:19], v[8:9] offset:64
	flat_load_dwordx4 v[24:27], v[8:9] offset:80
	s_waitcnt vmcnt(0) lgkmcnt(0)
	v_dot4c_i32_i8_e32 v16, v28, v29
	s_nop 2
	flat_store_dword v[8:9], v16 offset:64
	flat_load_dword v16, v[4:5] offset:8
	s_nop 0
	flat_load_dword v28, v[6:7] offset:4
	s_waitcnt vmcnt(0) lgkmcnt(0)
	v_dot4c_i32_i8_e32 v17, v16, v28
	s_nop 2
	flat_store_dword v[8:9], v17 offset:68
	flat_load_dword v16, v[4:5] offset:8
	s_nop 0
	flat_load_dword v17, v[6:7] offset:8
	s_waitcnt vmcnt(0) lgkmcnt(0)
	v_dot4c_i32_i8_e32 v18, v16, v17
	s_nop 2
	flat_store_dword v[8:9], v18 offset:72
	flat_load_dword v16, v[4:5] offset:8
	;; [unrolled: 29-line block ×3, first 2 shown]
	flat_load_dword v17, v[6:7] offset:12
	s_waitcnt vmcnt(0) lgkmcnt(0)
	v_dot4c_i32_i8_e32 v19, v16, v17
	s_nop 2
	flat_store_dword v[8:9], v19 offset:108
	flat_load_dword v16, v[4:5]
	flat_load_dword v17, v[6:7] offset:16
	s_waitcnt vmcnt(0) lgkmcnt(0)
	v_dot4c_i32_i8_e32 v12, v16, v17
	s_nop 2
	flat_store_dword v[8:9], v12 offset:16
	flat_load_dword v12, v[4:5]
	s_nop 0
	flat_load_dword v16, v[6:7] offset:20
	s_waitcnt vmcnt(0) lgkmcnt(0)
	v_dot4c_i32_i8_e32 v13, v12, v16
	s_nop 2
	flat_store_dword v[8:9], v13 offset:20
	flat_load_dword v12, v[4:5]
	s_nop 0
	flat_load_dword v13, v[6:7] offset:24
	s_waitcnt vmcnt(0) lgkmcnt(0)
	v_dot4c_i32_i8_e32 v14, v12, v13
	s_nop 2
	flat_store_dword v[8:9], v14 offset:24
	flat_load_dword v12, v[4:5]
	flat_load_dword v13, v[6:7] offset:28
	s_waitcnt vmcnt(0) lgkmcnt(0)
	v_dot4c_i32_i8_e32 v15, v12, v13
	s_nop 2
	flat_store_dword v[8:9], v15 offset:28
	flat_load_dword v12, v[4:5] offset:4
	flat_load_dword v13, v[6:7] offset:16
	s_waitcnt vmcnt(0) lgkmcnt(0)
	v_dot4c_i32_i8_e32 v20, v12, v13
	s_nop 2
	flat_store_dword v[8:9], v20 offset:48
	flat_load_dword v12, v[4:5] offset:4
	;; [unrolled: 6-line block ×13, first 2 shown]
	flat_load_dwordx2 v[14:15], v[2:3]
	s_waitcnt vmcnt(0) lgkmcnt(0)
	v_ashrrev_i32_e32 v13, 31, v12
	v_lshl_add_u64 v[12:13], v[14:15], 0, v[12:13]
	v_add_co_u32_e32 v16, vcc, s0, v12
	s_nop 1
	v_addc_co_u32_e32 v17, vcc, 0, v13, vcc
	flat_load_dwordx4 v[12:15], v[16:17]
	flat_load_dword v20, v[4:5] offset:16
	s_waitcnt vmcnt(0) lgkmcnt(0)
	flat_store_dwordx4 v[4:5], v[12:15]
	flat_load_dword v21, v[6:7]
	s_nop 0
	flat_load_dwordx4 v[12:15], v[8:9] offset:128
	flat_load_dwordx4 v[16:19], v[8:9] offset:160
	s_waitcnt vmcnt(0) lgkmcnt(0)
	v_dot4c_i32_i8_e32 v12, v20, v21
	s_nop 2
	flat_store_dword v[8:9], v12 offset:128
	flat_load_dword v12, v[4:5] offset:16
	s_nop 0
	flat_load_dword v20, v[6:7] offset:4
	s_waitcnt vmcnt(0) lgkmcnt(0)
	v_dot4c_i32_i8_e32 v13, v12, v20
	s_nop 2
	flat_store_dword v[8:9], v13 offset:132
	flat_load_dword v12, v[4:5] offset:16
	s_nop 0
	flat_load_dword v13, v[6:7] offset:8
	s_waitcnt vmcnt(0) lgkmcnt(0)
	v_dot4c_i32_i8_e32 v14, v12, v13
	s_nop 2
	flat_store_dword v[8:9], v14 offset:136
	flat_load_dword v12, v[4:5] offset:16
	flat_load_dword v13, v[6:7] offset:12
	s_waitcnt vmcnt(0) lgkmcnt(0)
	v_dot4c_i32_i8_e32 v15, v12, v13
	s_nop 2
	flat_store_dword v[8:9], v15 offset:140
	flat_load_dword v12, v[4:5] offset:20
	flat_load_dword v13, v[6:7]
	s_waitcnt vmcnt(0) lgkmcnt(0)
	v_dot4c_i32_i8_e32 v16, v12, v13
	s_nop 2
	flat_store_dword v[8:9], v16 offset:160
	flat_load_dword v12, v[4:5] offset:20
	flat_load_dword v13, v[6:7] offset:4
	s_waitcnt vmcnt(0) lgkmcnt(0)
	v_dot4c_i32_i8_e32 v17, v12, v13
	s_nop 2
	flat_store_dword v[8:9], v17 offset:164
	flat_load_dword v12, v[4:5] offset:20
	flat_load_dword v13, v[6:7] offset:8
	;; [unrolled: 6-line block ×3, first 2 shown]
	s_waitcnt vmcnt(0) lgkmcnt(0)
	v_dot4c_i32_i8_e32 v19, v12, v13
	s_nop 2
	flat_store_dword v[8:9], v19 offset:172
	flat_load_dword v20, v[4:5] offset:24
	flat_load_dword v21, v[6:7]
	flat_load_dwordx4 v[12:15], v[8:9] offset:192
	s_nop 0
	flat_load_dwordx4 v[16:19], v[8:9] offset:224
	s_waitcnt vmcnt(0) lgkmcnt(0)
	v_dot4c_i32_i8_e32 v12, v20, v21
	s_nop 2
	flat_store_dword v[8:9], v12 offset:192
	flat_load_dword v12, v[4:5] offset:24
	s_nop 0
	flat_load_dword v20, v[6:7] offset:4
	s_waitcnt vmcnt(0) lgkmcnt(0)
	v_dot4c_i32_i8_e32 v13, v12, v20
	s_nop 2
	flat_store_dword v[8:9], v13 offset:196
	flat_load_dword v12, v[4:5] offset:24
	s_nop 0
	flat_load_dword v13, v[6:7] offset:8
	s_waitcnt vmcnt(0) lgkmcnt(0)
	v_dot4c_i32_i8_e32 v14, v12, v13
	s_nop 2
	flat_store_dword v[8:9], v14 offset:200
	flat_load_dword v12, v[4:5] offset:24
	flat_load_dword v13, v[6:7] offset:12
	s_waitcnt vmcnt(0) lgkmcnt(0)
	v_dot4c_i32_i8_e32 v15, v12, v13
	s_nop 2
	flat_store_dword v[8:9], v15 offset:204
	flat_load_dword v12, v[4:5] offset:28
	flat_load_dword v13, v[6:7]
	s_waitcnt vmcnt(0) lgkmcnt(0)
	v_dot4c_i32_i8_e32 v16, v12, v13
	s_nop 2
	flat_store_dword v[8:9], v16 offset:224
	flat_load_dword v12, v[4:5] offset:28
	flat_load_dword v13, v[6:7] offset:4
	s_waitcnt vmcnt(0) lgkmcnt(0)
	v_dot4c_i32_i8_e32 v17, v12, v13
	s_nop 2
	flat_store_dword v[8:9], v17 offset:228
	flat_load_dword v12, v[4:5] offset:28
	flat_load_dword v13, v[6:7] offset:8
	;; [unrolled: 6-line block ×3, first 2 shown]
	s_waitcnt vmcnt(0) lgkmcnt(0)
	v_dot4c_i32_i8_e32 v19, v12, v13
	s_nop 2
	flat_store_dword v[8:9], v19 offset:236
	flat_load_dword v12, v[0:1] offset:48
	flat_load_dwordx2 v[14:15], v[10:11]
	s_waitcnt vmcnt(0) lgkmcnt(0)
	v_ashrrev_i32_e32 v13, 31, v12
	v_lshl_add_u64 v[12:13], v[14:15], 0, v[12:13]
	v_add_co_u32_e32 v16, vcc, s0, v12
	s_nop 1
	v_addc_co_u32_e32 v17, vcc, 0, v13, vcc
	flat_load_dwordx4 v[12:15], v[16:17]
	flat_load_dword v20, v[6:7] offset:16
	s_waitcnt vmcnt(0) lgkmcnt(0)
	flat_store_dwordx4 v[6:7], v[12:15]
	flat_load_dword v21, v[4:5] offset:16
	s_nop 0
	flat_load_dwordx4 v[12:15], v[8:9] offset:144
	flat_load_dwordx4 v[16:19], v[8:9] offset:176
	s_waitcnt vmcnt(0) lgkmcnt(0)
	v_dot4c_i32_i8_e32 v12, v21, v20
	s_nop 2
	flat_store_dword v[8:9], v12 offset:144
	flat_load_dword v12, v[4:5] offset:16
	s_nop 0
	flat_load_dword v20, v[6:7] offset:20
	s_waitcnt vmcnt(0) lgkmcnt(0)
	v_dot4c_i32_i8_e32 v13, v12, v20
	s_nop 2
	flat_store_dword v[8:9], v13 offset:148
	flat_load_dword v12, v[4:5] offset:16
	s_nop 0
	flat_load_dword v13, v[6:7] offset:24
	s_waitcnt vmcnt(0) lgkmcnt(0)
	v_dot4c_i32_i8_e32 v14, v12, v13
	s_nop 2
	flat_store_dword v[8:9], v14 offset:152
	flat_load_dword v12, v[4:5] offset:16
	flat_load_dword v13, v[6:7] offset:28
	s_waitcnt vmcnt(0) lgkmcnt(0)
	v_dot4c_i32_i8_e32 v15, v12, v13
	s_nop 2
	flat_store_dword v[8:9], v15 offset:156
	flat_load_dword v12, v[4:5] offset:20
	;; [unrolled: 6-line block ×6, first 2 shown]
	flat_load_dword v21, v[6:7] offset:16
	flat_load_dwordx4 v[12:15], v[8:9] offset:208
	s_nop 0
	flat_load_dwordx4 v[16:19], v[8:9] offset:240
	s_waitcnt vmcnt(0) lgkmcnt(0)
	v_dot4c_i32_i8_e32 v12, v20, v21
	s_nop 2
	flat_store_dword v[8:9], v12 offset:208
	flat_load_dword v12, v[4:5] offset:24
	s_nop 0
	flat_load_dword v20, v[6:7] offset:20
	s_waitcnt vmcnt(0) lgkmcnt(0)
	v_dot4c_i32_i8_e32 v13, v12, v20
	s_nop 2
	flat_store_dword v[8:9], v13 offset:212
	flat_load_dword v12, v[4:5] offset:24
	s_nop 0
	flat_load_dword v13, v[6:7] offset:24
	s_waitcnt vmcnt(0) lgkmcnt(0)
	v_dot4c_i32_i8_e32 v14, v12, v13
	s_nop 2
	flat_store_dword v[8:9], v14 offset:216
	flat_load_dword v12, v[4:5] offset:24
	flat_load_dword v13, v[6:7] offset:28
	s_waitcnt vmcnt(0) lgkmcnt(0)
	v_dot4c_i32_i8_e32 v15, v12, v13
	s_nop 2
	flat_store_dword v[8:9], v15 offset:220
	flat_load_dword v12, v[4:5] offset:28
	;; [unrolled: 6-line block ×6, first 2 shown]
	flat_load_dwordx2 v[14:15], v[10:11]
	s_waitcnt vmcnt(0) lgkmcnt(0)
	v_ashrrev_i32_e32 v13, 31, v12
	v_lshl_add_u64 v[12:13], v[14:15], 0, v[12:13]
	v_add_co_u32_e32 v12, vcc, s0, v12
	s_nop 1
	v_addc_co_u32_e32 v13, vcc, 0, v13, vcc
	flat_load_dwordx4 v[12:15], v[12:13] offset:256
	s_waitcnt vmcnt(0) lgkmcnt(0)
	flat_store_dwordx4 v[6:7], v[12:15] offset:16
	flat_load_dword v12, v[0:1] offset:16
	s_nop 0
	flat_load_dwordx2 v[14:15], v[2:3]
	s_waitcnt vmcnt(0) lgkmcnt(0)
	v_ashrrev_i32_e32 v13, 31, v12
	v_lshl_add_u64 v[12:13], v[14:15], 0, v[12:13]
	v_add_co_u32_e32 v16, vcc, s0, v12
	s_nop 1
	v_addc_co_u32_e32 v17, vcc, 0, v13, vcc
	flat_load_dwordx4 v[12:15], v[16:17] offset:256
	flat_load_dword v20, v[4:5]
	s_waitcnt vmcnt(0) lgkmcnt(0)
	flat_store_dwordx4 v[4:5], v[12:15] offset:16
	flat_load_dword v21, v[6:7]
	flat_load_dwordx4 v[16:19], v[8:9]
	s_nop 0
	flat_load_dwordx4 v[12:15], v[8:9] offset:16
	s_waitcnt vmcnt(0) lgkmcnt(0)
	v_dot4c_i32_i8_e32 v16, v20, v21
	s_nop 2
	flat_store_dword v[8:9], v16
	flat_load_dword v16, v[4:5]
	s_nop 0
	flat_load_dword v20, v[6:7] offset:4
	s_waitcnt vmcnt(0) lgkmcnt(0)
	v_dot4c_i32_i8_e32 v17, v16, v20
	s_nop 2
	flat_store_dword v[8:9], v17 offset:4
	flat_load_dword v16, v[4:5]
	s_nop 0
	flat_load_dword v17, v[6:7] offset:8
	s_waitcnt vmcnt(0) lgkmcnt(0)
	v_dot4c_i32_i8_e32 v18, v16, v17
	s_nop 2
	flat_store_dword v[8:9], v18 offset:8
	flat_load_dword v16, v[4:5]
	flat_load_dword v17, v[6:7] offset:12
	s_waitcnt vmcnt(0) lgkmcnt(0)
	v_dot4c_i32_i8_e32 v19, v16, v17
	s_nop 2
	flat_store_dword v[8:9], v19 offset:12
	flat_load_dword v24, v[4:5] offset:4
	flat_load_dword v25, v[6:7]
	s_nop 0
	flat_load_dwordx4 v[16:19], v[8:9] offset:32
	flat_load_dwordx4 v[20:23], v[8:9] offset:48
	s_waitcnt vmcnt(0) lgkmcnt(0)
	v_dot4c_i32_i8_e32 v16, v24, v25
	s_nop 2
	flat_store_dword v[8:9], v16 offset:32
	flat_load_dword v16, v[4:5] offset:4
	s_nop 0
	flat_load_dword v24, v[6:7] offset:4
	s_waitcnt vmcnt(0) lgkmcnt(0)
	v_dot4c_i32_i8_e32 v17, v16, v24
	s_nop 2
	flat_store_dword v[8:9], v17 offset:36
	flat_load_dword v16, v[4:5] offset:4
	s_nop 0
	flat_load_dword v17, v[6:7] offset:8
	s_waitcnt vmcnt(0) lgkmcnt(0)
	v_dot4c_i32_i8_e32 v18, v16, v17
	s_nop 2
	flat_store_dword v[8:9], v18 offset:40
	flat_load_dword v16, v[4:5] offset:4
	flat_load_dword v17, v[6:7] offset:12
	s_waitcnt vmcnt(0) lgkmcnt(0)
	v_dot4c_i32_i8_e32 v19, v16, v17
	s_nop 2
	flat_store_dword v[8:9], v19 offset:44
	flat_load_dword v28, v[4:5] offset:8
	flat_load_dword v29, v[6:7]
	s_nop 0
	flat_load_dwordx4 v[16:19], v[8:9] offset:64
	flat_load_dwordx4 v[24:27], v[8:9] offset:80
	s_waitcnt vmcnt(0) lgkmcnt(0)
	v_dot4c_i32_i8_e32 v16, v28, v29
	s_nop 2
	flat_store_dword v[8:9], v16 offset:64
	flat_load_dword v16, v[4:5] offset:8
	s_nop 0
	flat_load_dword v28, v[6:7] offset:4
	s_waitcnt vmcnt(0) lgkmcnt(0)
	v_dot4c_i32_i8_e32 v17, v16, v28
	s_nop 2
	flat_store_dword v[8:9], v17 offset:68
	flat_load_dword v16, v[4:5] offset:8
	s_nop 0
	flat_load_dword v17, v[6:7] offset:8
	s_waitcnt vmcnt(0) lgkmcnt(0)
	v_dot4c_i32_i8_e32 v18, v16, v17
	s_nop 2
	flat_store_dword v[8:9], v18 offset:72
	flat_load_dword v16, v[4:5] offset:8
	;; [unrolled: 29-line block ×3, first 2 shown]
	flat_load_dword v17, v[6:7] offset:12
	s_waitcnt vmcnt(0) lgkmcnt(0)
	v_dot4c_i32_i8_e32 v19, v16, v17
	s_nop 2
	flat_store_dword v[8:9], v19 offset:108
	flat_load_dword v16, v[4:5]
	flat_load_dword v17, v[6:7] offset:16
	s_waitcnt vmcnt(0) lgkmcnt(0)
	v_dot4c_i32_i8_e32 v12, v16, v17
	s_nop 2
	flat_store_dword v[8:9], v12 offset:16
	flat_load_dword v12, v[4:5]
	s_nop 0
	flat_load_dword v16, v[6:7] offset:20
	s_waitcnt vmcnt(0) lgkmcnt(0)
	v_dot4c_i32_i8_e32 v13, v12, v16
	s_nop 2
	flat_store_dword v[8:9], v13 offset:20
	flat_load_dword v12, v[4:5]
	s_nop 0
	flat_load_dword v13, v[6:7] offset:24
	s_waitcnt vmcnt(0) lgkmcnt(0)
	v_dot4c_i32_i8_e32 v14, v12, v13
	s_nop 2
	flat_store_dword v[8:9], v14 offset:24
	flat_load_dword v12, v[4:5]
	flat_load_dword v13, v[6:7] offset:28
	s_waitcnt vmcnt(0) lgkmcnt(0)
	v_dot4c_i32_i8_e32 v15, v12, v13
	s_nop 2
	flat_store_dword v[8:9], v15 offset:28
	flat_load_dword v12, v[4:5] offset:4
	flat_load_dword v13, v[6:7] offset:16
	s_waitcnt vmcnt(0) lgkmcnt(0)
	v_dot4c_i32_i8_e32 v20, v12, v13
	s_nop 2
	flat_store_dword v[8:9], v20 offset:48
	flat_load_dword v12, v[4:5] offset:4
	;; [unrolled: 6-line block ×13, first 2 shown]
	flat_load_dwordx2 v[14:15], v[2:3]
	s_waitcnt vmcnt(0) lgkmcnt(0)
	v_ashrrev_i32_e32 v13, 31, v12
	v_lshl_add_u64 v[12:13], v[14:15], 0, v[12:13]
	v_add_co_u32_e32 v16, vcc, s0, v12
	s_nop 1
	v_addc_co_u32_e32 v17, vcc, 0, v13, vcc
	flat_load_dwordx4 v[12:15], v[16:17] offset:512
	flat_load_dword v20, v[4:5] offset:16
	s_waitcnt vmcnt(0) lgkmcnt(0)
	flat_store_dwordx4 v[4:5], v[12:15]
	flat_load_dword v21, v[6:7]
	s_nop 0
	flat_load_dwordx4 v[12:15], v[8:9] offset:128
	flat_load_dwordx4 v[16:19], v[8:9] offset:160
	s_waitcnt vmcnt(0) lgkmcnt(0)
	v_dot4c_i32_i8_e32 v12, v20, v21
	s_nop 2
	flat_store_dword v[8:9], v12 offset:128
	flat_load_dword v12, v[4:5] offset:16
	s_nop 0
	flat_load_dword v20, v[6:7] offset:4
	s_waitcnt vmcnt(0) lgkmcnt(0)
	v_dot4c_i32_i8_e32 v13, v12, v20
	s_nop 2
	flat_store_dword v[8:9], v13 offset:132
	flat_load_dword v12, v[4:5] offset:16
	s_nop 0
	flat_load_dword v13, v[6:7] offset:8
	s_waitcnt vmcnt(0) lgkmcnt(0)
	v_dot4c_i32_i8_e32 v14, v12, v13
	s_nop 2
	flat_store_dword v[8:9], v14 offset:136
	flat_load_dword v12, v[4:5] offset:16
	flat_load_dword v13, v[6:7] offset:12
	s_waitcnt vmcnt(0) lgkmcnt(0)
	v_dot4c_i32_i8_e32 v15, v12, v13
	s_nop 2
	flat_store_dword v[8:9], v15 offset:140
	flat_load_dword v12, v[4:5] offset:20
	flat_load_dword v13, v[6:7]
	s_waitcnt vmcnt(0) lgkmcnt(0)
	v_dot4c_i32_i8_e32 v16, v12, v13
	s_nop 2
	flat_store_dword v[8:9], v16 offset:160
	flat_load_dword v12, v[4:5] offset:20
	flat_load_dword v13, v[6:7] offset:4
	s_waitcnt vmcnt(0) lgkmcnt(0)
	v_dot4c_i32_i8_e32 v17, v12, v13
	s_nop 2
	flat_store_dword v[8:9], v17 offset:164
	flat_load_dword v12, v[4:5] offset:20
	flat_load_dword v13, v[6:7] offset:8
	;; [unrolled: 6-line block ×3, first 2 shown]
	s_waitcnt vmcnt(0) lgkmcnt(0)
	v_dot4c_i32_i8_e32 v19, v12, v13
	s_nop 2
	flat_store_dword v[8:9], v19 offset:172
	flat_load_dword v20, v[4:5] offset:24
	flat_load_dword v21, v[6:7]
	flat_load_dwordx4 v[12:15], v[8:9] offset:192
	s_nop 0
	flat_load_dwordx4 v[16:19], v[8:9] offset:224
	s_waitcnt vmcnt(0) lgkmcnt(0)
	v_dot4c_i32_i8_e32 v12, v20, v21
	s_nop 2
	flat_store_dword v[8:9], v12 offset:192
	flat_load_dword v12, v[4:5] offset:24
	s_nop 0
	flat_load_dword v20, v[6:7] offset:4
	s_waitcnt vmcnt(0) lgkmcnt(0)
	v_dot4c_i32_i8_e32 v13, v12, v20
	s_nop 2
	flat_store_dword v[8:9], v13 offset:196
	flat_load_dword v12, v[4:5] offset:24
	s_nop 0
	flat_load_dword v13, v[6:7] offset:8
	s_waitcnt vmcnt(0) lgkmcnt(0)
	v_dot4c_i32_i8_e32 v14, v12, v13
	s_nop 2
	flat_store_dword v[8:9], v14 offset:200
	flat_load_dword v12, v[4:5] offset:24
	flat_load_dword v13, v[6:7] offset:12
	s_waitcnt vmcnt(0) lgkmcnt(0)
	v_dot4c_i32_i8_e32 v15, v12, v13
	s_nop 2
	flat_store_dword v[8:9], v15 offset:204
	flat_load_dword v12, v[4:5] offset:28
	flat_load_dword v13, v[6:7]
	s_waitcnt vmcnt(0) lgkmcnt(0)
	v_dot4c_i32_i8_e32 v16, v12, v13
	s_nop 2
	flat_store_dword v[8:9], v16 offset:224
	flat_load_dword v12, v[4:5] offset:28
	flat_load_dword v13, v[6:7] offset:4
	s_waitcnt vmcnt(0) lgkmcnt(0)
	v_dot4c_i32_i8_e32 v17, v12, v13
	s_nop 2
	flat_store_dword v[8:9], v17 offset:228
	flat_load_dword v12, v[4:5] offset:28
	flat_load_dword v13, v[6:7] offset:8
	;; [unrolled: 6-line block ×3, first 2 shown]
	s_waitcnt vmcnt(0) lgkmcnt(0)
	v_dot4c_i32_i8_e32 v19, v12, v13
	s_nop 2
	flat_store_dword v[8:9], v19 offset:236
	flat_load_dword v12, v[0:1] offset:48
	flat_load_dwordx2 v[14:15], v[10:11]
	s_waitcnt vmcnt(0) lgkmcnt(0)
	v_ashrrev_i32_e32 v13, 31, v12
	v_lshl_add_u64 v[12:13], v[14:15], 0, v[12:13]
	v_add_co_u32_e32 v16, vcc, s0, v12
	s_nop 1
	v_addc_co_u32_e32 v17, vcc, 0, v13, vcc
	flat_load_dwordx4 v[12:15], v[16:17] offset:512
	flat_load_dword v18, v[6:7] offset:16
	s_waitcnt vmcnt(0) lgkmcnt(0)
	flat_store_dwordx4 v[6:7], v[12:15]
	flat_load_dword v16, v[4:5] offset:16
	s_nop 0
	flat_load_dwordx4 v[12:15], v[8:9] offset:144
	s_waitcnt vmcnt(0) lgkmcnt(0)
	v_dot4c_i32_i8_e32 v12, v16, v18
	s_nop 2
	flat_store_dword v[8:9], v12 offset:144
	flat_load_dword v12, v[4:5] offset:16
	s_nop 0
	flat_load_dword v16, v[6:7] offset:20
	s_waitcnt vmcnt(0) lgkmcnt(0)
	v_dot4c_i32_i8_e32 v13, v12, v16
	s_nop 2
	flat_store_dword v[8:9], v13 offset:148
	flat_load_dword v12, v[4:5] offset:16
	s_nop 0
	flat_load_dword v13, v[6:7] offset:24
	flat_load_dwordx4 v[16:19], v[8:9] offset:176
	s_waitcnt vmcnt(0) lgkmcnt(0)
	v_dot4c_i32_i8_e32 v14, v12, v13
	s_nop 2
	flat_store_dword v[8:9], v14 offset:152
	flat_load_dword v12, v[4:5] offset:16
	flat_load_dword v13, v[6:7] offset:28
	s_waitcnt vmcnt(0) lgkmcnt(0)
	v_dot4c_i32_i8_e32 v15, v12, v13
	s_nop 2
	flat_store_dword v[8:9], v15 offset:156
	flat_load_dword v12, v[4:5] offset:20
	flat_load_dword v13, v[6:7] offset:16
	;; [unrolled: 6-line block ×6, first 2 shown]
	flat_load_dwordx4 v[12:15], v[8:9] offset:208
	s_nop 0
	flat_load_dwordx4 v[16:19], v[8:9] offset:240
	s_waitcnt vmcnt(0) lgkmcnt(0)
	v_dot4c_i32_i8_e32 v12, v20, v21
	s_nop 2
	flat_store_dword v[8:9], v12 offset:208
	flat_load_dword v12, v[4:5] offset:24
	s_nop 0
	flat_load_dword v20, v[6:7] offset:20
	s_waitcnt vmcnt(0) lgkmcnt(0)
	v_dot4c_i32_i8_e32 v13, v12, v20
	s_nop 2
	flat_store_dword v[8:9], v13 offset:212
	flat_load_dword v12, v[4:5] offset:24
	s_nop 0
	flat_load_dword v13, v[6:7] offset:24
	s_waitcnt vmcnt(0) lgkmcnt(0)
	v_dot4c_i32_i8_e32 v14, v12, v13
	s_nop 2
	flat_store_dword v[8:9], v14 offset:216
	flat_load_dword v12, v[4:5] offset:24
	flat_load_dword v13, v[6:7] offset:28
	s_waitcnt vmcnt(0) lgkmcnt(0)
	v_dot4c_i32_i8_e32 v15, v12, v13
	s_nop 2
	flat_store_dword v[8:9], v15 offset:220
	flat_load_dword v12, v[4:5] offset:28
	;; [unrolled: 6-line block ×6, first 2 shown]
	flat_load_dwordx2 v[14:15], v[10:11]
	s_waitcnt vmcnt(0) lgkmcnt(0)
	v_ashrrev_i32_e32 v13, 31, v12
	v_lshl_add_u64 v[12:13], v[14:15], 0, v[12:13]
	v_add_co_u32_e32 v12, vcc, s0, v12
	s_nop 1
	v_addc_co_u32_e32 v13, vcc, 0, v13, vcc
	flat_load_dwordx4 v[12:15], v[12:13] offset:768
	s_waitcnt vmcnt(0) lgkmcnt(0)
	flat_store_dwordx4 v[6:7], v[12:15] offset:16
	flat_load_dword v12, v[0:1] offset:16
	s_nop 0
	flat_load_dwordx2 v[14:15], v[2:3]
	s_waitcnt vmcnt(0) lgkmcnt(0)
	v_ashrrev_i32_e32 v13, 31, v12
	v_lshl_add_u64 v[12:13], v[14:15], 0, v[12:13]
	v_add_co_u32_e32 v16, vcc, s0, v12
	s_nop 1
	v_addc_co_u32_e32 v17, vcc, 0, v13, vcc
	flat_load_dwordx4 v[12:15], v[16:17] offset:768
	flat_load_dword v20, v[4:5]
	s_waitcnt vmcnt(0) lgkmcnt(0)
	flat_store_dwordx4 v[4:5], v[12:15] offset:16
	flat_load_dword v21, v[6:7]
	flat_load_dwordx4 v[16:19], v[8:9]
	s_nop 0
	flat_load_dwordx4 v[12:15], v[8:9] offset:16
	s_waitcnt vmcnt(0) lgkmcnt(0)
	v_dot4c_i32_i8_e32 v16, v20, v21
	s_nop 2
	flat_store_dword v[8:9], v16
	flat_load_dword v16, v[4:5]
	s_nop 0
	flat_load_dword v20, v[6:7] offset:4
	s_waitcnt vmcnt(0) lgkmcnt(0)
	v_dot4c_i32_i8_e32 v17, v16, v20
	s_nop 2
	flat_store_dword v[8:9], v17 offset:4
	flat_load_dword v16, v[4:5]
	s_nop 0
	flat_load_dword v17, v[6:7] offset:8
	s_waitcnt vmcnt(0) lgkmcnt(0)
	v_dot4c_i32_i8_e32 v18, v16, v17
	s_nop 2
	flat_store_dword v[8:9], v18 offset:8
	flat_load_dword v16, v[4:5]
	flat_load_dword v17, v[6:7] offset:12
	s_waitcnt vmcnt(0) lgkmcnt(0)
	v_dot4c_i32_i8_e32 v19, v16, v17
	s_nop 2
	flat_store_dword v[8:9], v19 offset:12
	flat_load_dword v24, v[4:5] offset:4
	flat_load_dword v25, v[6:7]
	s_nop 0
	flat_load_dwordx4 v[16:19], v[8:9] offset:32
	flat_load_dwordx4 v[20:23], v[8:9] offset:48
	s_waitcnt vmcnt(0) lgkmcnt(0)
	v_dot4c_i32_i8_e32 v16, v24, v25
	s_nop 2
	flat_store_dword v[8:9], v16 offset:32
	flat_load_dword v16, v[4:5] offset:4
	s_nop 0
	flat_load_dword v24, v[6:7] offset:4
	s_waitcnt vmcnt(0) lgkmcnt(0)
	v_dot4c_i32_i8_e32 v17, v16, v24
	s_nop 2
	flat_store_dword v[8:9], v17 offset:36
	flat_load_dword v16, v[4:5] offset:4
	s_nop 0
	flat_load_dword v17, v[6:7] offset:8
	s_waitcnt vmcnt(0) lgkmcnt(0)
	v_dot4c_i32_i8_e32 v18, v16, v17
	s_nop 2
	flat_store_dword v[8:9], v18 offset:40
	flat_load_dword v16, v[4:5] offset:4
	flat_load_dword v17, v[6:7] offset:12
	s_waitcnt vmcnt(0) lgkmcnt(0)
	v_dot4c_i32_i8_e32 v19, v16, v17
	s_nop 2
	flat_store_dword v[8:9], v19 offset:44
	flat_load_dword v28, v[4:5] offset:8
	flat_load_dword v29, v[6:7]
	s_nop 0
	flat_load_dwordx4 v[16:19], v[8:9] offset:64
	flat_load_dwordx4 v[24:27], v[8:9] offset:80
	s_waitcnt vmcnt(0) lgkmcnt(0)
	v_dot4c_i32_i8_e32 v16, v28, v29
	s_nop 2
	flat_store_dword v[8:9], v16 offset:64
	flat_load_dword v16, v[4:5] offset:8
	s_nop 0
	flat_load_dword v28, v[6:7] offset:4
	s_waitcnt vmcnt(0) lgkmcnt(0)
	v_dot4c_i32_i8_e32 v17, v16, v28
	s_nop 2
	flat_store_dword v[8:9], v17 offset:68
	flat_load_dword v16, v[4:5] offset:8
	s_nop 0
	flat_load_dword v17, v[6:7] offset:8
	s_waitcnt vmcnt(0) lgkmcnt(0)
	v_dot4c_i32_i8_e32 v18, v16, v17
	s_nop 2
	flat_store_dword v[8:9], v18 offset:72
	flat_load_dword v16, v[4:5] offset:8
	flat_load_dword v17, v[6:7] offset:12
	s_waitcnt vmcnt(0) lgkmcnt(0)
	v_dot4c_i32_i8_e32 v19, v16, v17
	s_nop 2
	flat_store_dword v[8:9], v19 offset:76
	flat_load_dword v32, v[4:5] offset:12
	flat_load_dword v33, v[6:7]
	s_nop 0
	flat_load_dwordx4 v[16:19], v[8:9] offset:96
	flat_load_dwordx4 v[28:31], v[8:9] offset:112
	s_waitcnt vmcnt(0) lgkmcnt(0)
	v_dot4c_i32_i8_e32 v16, v32, v33
	s_nop 2
	flat_store_dword v[8:9], v16 offset:96
	flat_load_dword v16, v[4:5] offset:12
	s_nop 0
	flat_load_dword v32, v[6:7] offset:4
	s_waitcnt vmcnt(0) lgkmcnt(0)
	v_dot4c_i32_i8_e32 v17, v16, v32
	s_nop 2
	flat_store_dword v[8:9], v17 offset:100
	flat_load_dword v16, v[4:5] offset:12
	s_nop 0
	flat_load_dword v17, v[6:7] offset:8
	s_waitcnt vmcnt(0) lgkmcnt(0)
	v_dot4c_i32_i8_e32 v18, v16, v17
	s_nop 2
	flat_store_dword v[8:9], v18 offset:104
	flat_load_dword v16, v[4:5] offset:12
	flat_load_dword v17, v[6:7] offset:12
	s_waitcnt vmcnt(0) lgkmcnt(0)
	v_dot4c_i32_i8_e32 v19, v16, v17
	s_nop 2
	flat_store_dword v[8:9], v19 offset:108
	flat_load_dword v16, v[4:5]
	flat_load_dword v17, v[6:7] offset:16
	s_waitcnt vmcnt(0) lgkmcnt(0)
	v_dot4c_i32_i8_e32 v12, v16, v17
	s_nop 2
	flat_store_dword v[8:9], v12 offset:16
	flat_load_dword v12, v[4:5]
	s_nop 0
	flat_load_dword v16, v[6:7] offset:20
	s_waitcnt vmcnt(0) lgkmcnt(0)
	v_dot4c_i32_i8_e32 v13, v12, v16
	s_nop 2
	flat_store_dword v[8:9], v13 offset:20
	flat_load_dword v12, v[4:5]
	s_nop 0
	flat_load_dword v13, v[6:7] offset:24
	s_waitcnt vmcnt(0) lgkmcnt(0)
	v_dot4c_i32_i8_e32 v14, v12, v13
	s_nop 2
	flat_store_dword v[8:9], v14 offset:24
	flat_load_dword v12, v[4:5]
	flat_load_dword v13, v[6:7] offset:28
	s_waitcnt vmcnt(0) lgkmcnt(0)
	v_dot4c_i32_i8_e32 v15, v12, v13
	s_nop 2
	flat_store_dword v[8:9], v15 offset:28
	flat_load_dword v12, v[4:5] offset:4
	flat_load_dword v13, v[6:7] offset:16
	s_waitcnt vmcnt(0) lgkmcnt(0)
	v_dot4c_i32_i8_e32 v20, v12, v13
	s_nop 2
	flat_store_dword v[8:9], v20 offset:48
	flat_load_dword v12, v[4:5] offset:4
	;; [unrolled: 6-line block ×13, first 2 shown]
	flat_load_dwordx2 v[14:15], v[2:3]
	s_waitcnt vmcnt(0) lgkmcnt(0)
	v_ashrrev_i32_e32 v13, 31, v12
	v_lshl_add_u64 v[12:13], v[14:15], 0, v[12:13]
	v_add_co_u32_e32 v16, vcc, s0, v12
	s_nop 1
	v_addc_co_u32_e32 v17, vcc, 0, v13, vcc
	flat_load_dwordx4 v[12:15], v[16:17] offset:1024
	flat_load_dword v20, v[4:5] offset:16
	s_waitcnt vmcnt(0) lgkmcnt(0)
	flat_store_dwordx4 v[4:5], v[12:15]
	flat_load_dword v21, v[6:7]
	s_nop 0
	flat_load_dwordx4 v[12:15], v[8:9] offset:128
	flat_load_dwordx4 v[16:19], v[8:9] offset:160
	s_waitcnt vmcnt(0) lgkmcnt(0)
	v_dot4c_i32_i8_e32 v12, v20, v21
	s_nop 2
	flat_store_dword v[8:9], v12 offset:128
	flat_load_dword v12, v[4:5] offset:16
	s_nop 0
	flat_load_dword v20, v[6:7] offset:4
	s_waitcnt vmcnt(0) lgkmcnt(0)
	v_dot4c_i32_i8_e32 v13, v12, v20
	s_nop 2
	flat_store_dword v[8:9], v13 offset:132
	flat_load_dword v12, v[4:5] offset:16
	s_nop 0
	flat_load_dword v13, v[6:7] offset:8
	s_waitcnt vmcnt(0) lgkmcnt(0)
	v_dot4c_i32_i8_e32 v14, v12, v13
	s_nop 2
	flat_store_dword v[8:9], v14 offset:136
	flat_load_dword v12, v[4:5] offset:16
	flat_load_dword v13, v[6:7] offset:12
	s_waitcnt vmcnt(0) lgkmcnt(0)
	v_dot4c_i32_i8_e32 v15, v12, v13
	s_nop 2
	flat_store_dword v[8:9], v15 offset:140
	flat_load_dword v12, v[4:5] offset:20
	flat_load_dword v13, v[6:7]
	s_waitcnt vmcnt(0) lgkmcnt(0)
	v_dot4c_i32_i8_e32 v16, v12, v13
	s_nop 2
	flat_store_dword v[8:9], v16 offset:160
	flat_load_dword v12, v[4:5] offset:20
	flat_load_dword v13, v[6:7] offset:4
	s_waitcnt vmcnt(0) lgkmcnt(0)
	v_dot4c_i32_i8_e32 v17, v12, v13
	s_nop 2
	flat_store_dword v[8:9], v17 offset:164
	flat_load_dword v12, v[4:5] offset:20
	flat_load_dword v13, v[6:7] offset:8
	;; [unrolled: 6-line block ×3, first 2 shown]
	s_waitcnt vmcnt(0) lgkmcnt(0)
	v_dot4c_i32_i8_e32 v19, v12, v13
	s_nop 2
	flat_store_dword v[8:9], v19 offset:172
	flat_load_dword v20, v[4:5] offset:24
	flat_load_dword v21, v[6:7]
	flat_load_dwordx4 v[12:15], v[8:9] offset:192
	s_nop 0
	flat_load_dwordx4 v[16:19], v[8:9] offset:224
	s_waitcnt vmcnt(0) lgkmcnt(0)
	v_dot4c_i32_i8_e32 v12, v20, v21
	s_nop 2
	flat_store_dword v[8:9], v12 offset:192
	flat_load_dword v12, v[4:5] offset:24
	s_nop 0
	flat_load_dword v20, v[6:7] offset:4
	s_waitcnt vmcnt(0) lgkmcnt(0)
	v_dot4c_i32_i8_e32 v13, v12, v20
	s_nop 2
	flat_store_dword v[8:9], v13 offset:196
	flat_load_dword v12, v[4:5] offset:24
	s_nop 0
	flat_load_dword v13, v[6:7] offset:8
	s_waitcnt vmcnt(0) lgkmcnt(0)
	v_dot4c_i32_i8_e32 v14, v12, v13
	s_nop 2
	flat_store_dword v[8:9], v14 offset:200
	flat_load_dword v12, v[4:5] offset:24
	flat_load_dword v13, v[6:7] offset:12
	s_waitcnt vmcnt(0) lgkmcnt(0)
	v_dot4c_i32_i8_e32 v15, v12, v13
	s_nop 2
	flat_store_dword v[8:9], v15 offset:204
	flat_load_dword v12, v[4:5] offset:28
	flat_load_dword v13, v[6:7]
	s_waitcnt vmcnt(0) lgkmcnt(0)
	v_dot4c_i32_i8_e32 v16, v12, v13
	s_nop 2
	flat_store_dword v[8:9], v16 offset:224
	flat_load_dword v12, v[4:5] offset:28
	flat_load_dword v13, v[6:7] offset:4
	s_waitcnt vmcnt(0) lgkmcnt(0)
	v_dot4c_i32_i8_e32 v17, v12, v13
	s_nop 2
	flat_store_dword v[8:9], v17 offset:228
	flat_load_dword v12, v[4:5] offset:28
	flat_load_dword v13, v[6:7] offset:8
	;; [unrolled: 6-line block ×3, first 2 shown]
	s_waitcnt vmcnt(0) lgkmcnt(0)
	v_dot4c_i32_i8_e32 v19, v12, v13
	s_nop 2
	flat_store_dword v[8:9], v19 offset:236
	flat_load_dword v12, v[0:1] offset:48
	flat_load_dwordx2 v[14:15], v[10:11]
	s_waitcnt vmcnt(0) lgkmcnt(0)
	v_ashrrev_i32_e32 v13, 31, v12
	v_lshl_add_u64 v[12:13], v[14:15], 0, v[12:13]
	v_add_co_u32_e32 v16, vcc, s0, v12
	s_nop 1
	v_addc_co_u32_e32 v17, vcc, 0, v13, vcc
	flat_load_dwordx4 v[12:15], v[16:17] offset:1024
	flat_load_dword v20, v[6:7] offset:16
	s_waitcnt vmcnt(0) lgkmcnt(0)
	flat_store_dwordx4 v[6:7], v[12:15]
	flat_load_dword v21, v[4:5] offset:16
	s_nop 0
	flat_load_dwordx4 v[12:15], v[8:9] offset:144
	flat_load_dwordx4 v[16:19], v[8:9] offset:176
	s_waitcnt vmcnt(0) lgkmcnt(0)
	v_dot4c_i32_i8_e32 v12, v21, v20
	s_nop 2
	flat_store_dword v[8:9], v12 offset:144
	flat_load_dword v12, v[4:5] offset:16
	s_nop 0
	flat_load_dword v20, v[6:7] offset:20
	s_waitcnt vmcnt(0) lgkmcnt(0)
	v_dot4c_i32_i8_e32 v13, v12, v20
	s_nop 2
	flat_store_dword v[8:9], v13 offset:148
	flat_load_dword v12, v[4:5] offset:16
	s_nop 0
	flat_load_dword v13, v[6:7] offset:24
	s_waitcnt vmcnt(0) lgkmcnt(0)
	v_dot4c_i32_i8_e32 v14, v12, v13
	s_nop 2
	flat_store_dword v[8:9], v14 offset:152
	flat_load_dword v12, v[4:5] offset:16
	flat_load_dword v13, v[6:7] offset:28
	s_waitcnt vmcnt(0) lgkmcnt(0)
	v_dot4c_i32_i8_e32 v15, v12, v13
	s_nop 2
	flat_store_dword v[8:9], v15 offset:156
	flat_load_dword v12, v[4:5] offset:20
	;; [unrolled: 6-line block ×6, first 2 shown]
	flat_load_dword v21, v[6:7] offset:16
	flat_load_dwordx4 v[12:15], v[8:9] offset:208
	s_nop 0
	flat_load_dwordx4 v[16:19], v[8:9] offset:240
	s_waitcnt vmcnt(0) lgkmcnt(0)
	v_dot4c_i32_i8_e32 v12, v20, v21
	s_nop 2
	flat_store_dword v[8:9], v12 offset:208
	flat_load_dword v12, v[4:5] offset:24
	s_nop 0
	flat_load_dword v20, v[6:7] offset:20
	s_waitcnt vmcnt(0) lgkmcnt(0)
	v_dot4c_i32_i8_e32 v13, v12, v20
	s_nop 2
	flat_store_dword v[8:9], v13 offset:212
	flat_load_dword v12, v[4:5] offset:24
	s_nop 0
	flat_load_dword v13, v[6:7] offset:24
	s_waitcnt vmcnt(0) lgkmcnt(0)
	v_dot4c_i32_i8_e32 v14, v12, v13
	s_nop 2
	flat_store_dword v[8:9], v14 offset:216
	flat_load_dword v12, v[4:5] offset:24
	flat_load_dword v13, v[6:7] offset:28
	s_waitcnt vmcnt(0) lgkmcnt(0)
	v_dot4c_i32_i8_e32 v15, v12, v13
	s_nop 2
	flat_store_dword v[8:9], v15 offset:220
	flat_load_dword v12, v[4:5] offset:28
	;; [unrolled: 6-line block ×6, first 2 shown]
	flat_load_dwordx2 v[14:15], v[10:11]
	s_waitcnt vmcnt(0) lgkmcnt(0)
	v_ashrrev_i32_e32 v13, 31, v12
	v_lshl_add_u64 v[12:13], v[14:15], 0, v[12:13]
	v_add_co_u32_e32 v12, vcc, s0, v12
	s_nop 1
	v_addc_co_u32_e32 v13, vcc, 0, v13, vcc
	flat_load_dwordx4 v[12:15], v[12:13] offset:1280
	s_waitcnt vmcnt(0) lgkmcnt(0)
	flat_store_dwordx4 v[6:7], v[12:15] offset:16
	flat_load_dword v12, v[0:1] offset:16
	s_nop 0
	flat_load_dwordx2 v[14:15], v[2:3]
	s_waitcnt vmcnt(0) lgkmcnt(0)
	v_ashrrev_i32_e32 v13, 31, v12
	v_lshl_add_u64 v[12:13], v[14:15], 0, v[12:13]
	v_add_co_u32_e32 v16, vcc, s0, v12
	s_nop 1
	v_addc_co_u32_e32 v17, vcc, 0, v13, vcc
	flat_load_dwordx4 v[12:15], v[16:17] offset:1280
	flat_load_dword v20, v[4:5]
	s_waitcnt vmcnt(0) lgkmcnt(0)
	flat_store_dwordx4 v[4:5], v[12:15] offset:16
	flat_load_dword v21, v[6:7]
	flat_load_dwordx4 v[16:19], v[8:9]
	s_nop 0
	flat_load_dwordx4 v[12:15], v[8:9] offset:16
	s_waitcnt vmcnt(0) lgkmcnt(0)
	v_dot4c_i32_i8_e32 v16, v20, v21
	s_nop 2
	flat_store_dword v[8:9], v16
	flat_load_dword v16, v[4:5]
	s_nop 0
	flat_load_dword v20, v[6:7] offset:4
	s_waitcnt vmcnt(0) lgkmcnt(0)
	v_dot4c_i32_i8_e32 v17, v16, v20
	s_nop 2
	flat_store_dword v[8:9], v17 offset:4
	flat_load_dword v16, v[4:5]
	s_nop 0
	flat_load_dword v17, v[6:7] offset:8
	s_waitcnt vmcnt(0) lgkmcnt(0)
	v_dot4c_i32_i8_e32 v18, v16, v17
	s_nop 2
	flat_store_dword v[8:9], v18 offset:8
	flat_load_dword v16, v[4:5]
	flat_load_dword v17, v[6:7] offset:12
	s_waitcnt vmcnt(0) lgkmcnt(0)
	v_dot4c_i32_i8_e32 v19, v16, v17
	s_nop 2
	flat_store_dword v[8:9], v19 offset:12
	flat_load_dword v24, v[4:5] offset:4
	flat_load_dword v25, v[6:7]
	s_nop 0
	flat_load_dwordx4 v[16:19], v[8:9] offset:32
	flat_load_dwordx4 v[20:23], v[8:9] offset:48
	s_waitcnt vmcnt(0) lgkmcnt(0)
	v_dot4c_i32_i8_e32 v16, v24, v25
	s_nop 2
	flat_store_dword v[8:9], v16 offset:32
	flat_load_dword v16, v[4:5] offset:4
	s_nop 0
	flat_load_dword v24, v[6:7] offset:4
	s_waitcnt vmcnt(0) lgkmcnt(0)
	v_dot4c_i32_i8_e32 v17, v16, v24
	s_nop 2
	flat_store_dword v[8:9], v17 offset:36
	flat_load_dword v16, v[4:5] offset:4
	s_nop 0
	flat_load_dword v17, v[6:7] offset:8
	s_waitcnt vmcnt(0) lgkmcnt(0)
	v_dot4c_i32_i8_e32 v18, v16, v17
	s_nop 2
	flat_store_dword v[8:9], v18 offset:40
	flat_load_dword v16, v[4:5] offset:4
	flat_load_dword v17, v[6:7] offset:12
	s_waitcnt vmcnt(0) lgkmcnt(0)
	v_dot4c_i32_i8_e32 v19, v16, v17
	s_nop 2
	flat_store_dword v[8:9], v19 offset:44
	flat_load_dword v28, v[4:5] offset:8
	flat_load_dword v29, v[6:7]
	s_nop 0
	flat_load_dwordx4 v[16:19], v[8:9] offset:64
	flat_load_dwordx4 v[24:27], v[8:9] offset:80
	s_waitcnt vmcnt(0) lgkmcnt(0)
	v_dot4c_i32_i8_e32 v16, v28, v29
	s_nop 2
	flat_store_dword v[8:9], v16 offset:64
	flat_load_dword v16, v[4:5] offset:8
	s_nop 0
	flat_load_dword v28, v[6:7] offset:4
	s_waitcnt vmcnt(0) lgkmcnt(0)
	v_dot4c_i32_i8_e32 v17, v16, v28
	s_nop 2
	flat_store_dword v[8:9], v17 offset:68
	flat_load_dword v16, v[4:5] offset:8
	s_nop 0
	flat_load_dword v17, v[6:7] offset:8
	s_waitcnt vmcnt(0) lgkmcnt(0)
	v_dot4c_i32_i8_e32 v18, v16, v17
	s_nop 2
	flat_store_dword v[8:9], v18 offset:72
	flat_load_dword v16, v[4:5] offset:8
	;; [unrolled: 29-line block ×3, first 2 shown]
	flat_load_dword v17, v[6:7] offset:12
	s_waitcnt vmcnt(0) lgkmcnt(0)
	v_dot4c_i32_i8_e32 v19, v16, v17
	s_nop 2
	flat_store_dword v[8:9], v19 offset:108
	flat_load_dword v16, v[4:5]
	flat_load_dword v17, v[6:7] offset:16
	s_waitcnt vmcnt(0) lgkmcnt(0)
	v_dot4c_i32_i8_e32 v12, v16, v17
	s_nop 2
	flat_store_dword v[8:9], v12 offset:16
	flat_load_dword v12, v[4:5]
	s_nop 0
	flat_load_dword v16, v[6:7] offset:20
	s_waitcnt vmcnt(0) lgkmcnt(0)
	v_dot4c_i32_i8_e32 v13, v12, v16
	s_nop 2
	flat_store_dword v[8:9], v13 offset:20
	flat_load_dword v12, v[4:5]
	s_nop 0
	flat_load_dword v13, v[6:7] offset:24
	s_waitcnt vmcnt(0) lgkmcnt(0)
	v_dot4c_i32_i8_e32 v14, v12, v13
	s_nop 2
	flat_store_dword v[8:9], v14 offset:24
	flat_load_dword v12, v[4:5]
	flat_load_dword v13, v[6:7] offset:28
	s_waitcnt vmcnt(0) lgkmcnt(0)
	v_dot4c_i32_i8_e32 v15, v12, v13
	s_nop 2
	flat_store_dword v[8:9], v15 offset:28
	flat_load_dword v12, v[4:5] offset:4
	flat_load_dword v13, v[6:7] offset:16
	s_waitcnt vmcnt(0) lgkmcnt(0)
	v_dot4c_i32_i8_e32 v20, v12, v13
	s_nop 2
	flat_store_dword v[8:9], v20 offset:48
	flat_load_dword v12, v[4:5] offset:4
	;; [unrolled: 6-line block ×13, first 2 shown]
	flat_load_dwordx2 v[14:15], v[2:3]
	s_waitcnt vmcnt(0) lgkmcnt(0)
	v_ashrrev_i32_e32 v13, 31, v12
	v_lshl_add_u64 v[12:13], v[14:15], 0, v[12:13]
	v_add_co_u32_e32 v16, vcc, s0, v12
	s_nop 1
	v_addc_co_u32_e32 v17, vcc, 0, v13, vcc
	flat_load_dwordx4 v[12:15], v[16:17] offset:1536
	flat_load_dword v20, v[4:5] offset:16
	s_waitcnt vmcnt(0) lgkmcnt(0)
	flat_store_dwordx4 v[4:5], v[12:15]
	flat_load_dword v21, v[6:7]
	s_nop 0
	flat_load_dwordx4 v[12:15], v[8:9] offset:128
	flat_load_dwordx4 v[16:19], v[8:9] offset:160
	s_waitcnt vmcnt(0) lgkmcnt(0)
	v_dot4c_i32_i8_e32 v12, v20, v21
	s_nop 2
	flat_store_dword v[8:9], v12 offset:128
	flat_load_dword v12, v[4:5] offset:16
	s_nop 0
	flat_load_dword v20, v[6:7] offset:4
	s_waitcnt vmcnt(0) lgkmcnt(0)
	v_dot4c_i32_i8_e32 v13, v12, v20
	s_nop 2
	flat_store_dword v[8:9], v13 offset:132
	flat_load_dword v12, v[4:5] offset:16
	s_nop 0
	flat_load_dword v13, v[6:7] offset:8
	s_waitcnt vmcnt(0) lgkmcnt(0)
	v_dot4c_i32_i8_e32 v14, v12, v13
	s_nop 2
	flat_store_dword v[8:9], v14 offset:136
	flat_load_dword v12, v[4:5] offset:16
	flat_load_dword v13, v[6:7] offset:12
	s_waitcnt vmcnt(0) lgkmcnt(0)
	v_dot4c_i32_i8_e32 v15, v12, v13
	s_nop 2
	flat_store_dword v[8:9], v15 offset:140
	flat_load_dword v12, v[4:5] offset:20
	flat_load_dword v13, v[6:7]
	s_waitcnt vmcnt(0) lgkmcnt(0)
	v_dot4c_i32_i8_e32 v16, v12, v13
	s_nop 2
	flat_store_dword v[8:9], v16 offset:160
	flat_load_dword v12, v[4:5] offset:20
	flat_load_dword v13, v[6:7] offset:4
	s_waitcnt vmcnt(0) lgkmcnt(0)
	v_dot4c_i32_i8_e32 v17, v12, v13
	s_nop 2
	flat_store_dword v[8:9], v17 offset:164
	flat_load_dword v12, v[4:5] offset:20
	flat_load_dword v13, v[6:7] offset:8
	s_waitcnt vmcnt(0) lgkmcnt(0)
	v_dot4c_i32_i8_e32 v18, v12, v13
	s_nop 2
	flat_store_dword v[8:9], v18 offset:168
	flat_load_dword v12, v[4:5] offset:20
	flat_load_dword v13, v[6:7] offset:12
	s_waitcnt vmcnt(0) lgkmcnt(0)
	v_dot4c_i32_i8_e32 v19, v12, v13
	s_nop 2
	flat_store_dword v[8:9], v19 offset:172
	flat_load_dword v20, v[4:5] offset:24
	flat_load_dword v21, v[6:7]
	flat_load_dwordx4 v[12:15], v[8:9] offset:192
	s_nop 0
	flat_load_dwordx4 v[16:19], v[8:9] offset:224
	s_waitcnt vmcnt(0) lgkmcnt(0)
	v_dot4c_i32_i8_e32 v12, v20, v21
	s_nop 2
	flat_store_dword v[8:9], v12 offset:192
	flat_load_dword v12, v[4:5] offset:24
	s_nop 0
	flat_load_dword v20, v[6:7] offset:4
	s_waitcnt vmcnt(0) lgkmcnt(0)
	v_dot4c_i32_i8_e32 v13, v12, v20
	s_nop 2
	flat_store_dword v[8:9], v13 offset:196
	flat_load_dword v12, v[4:5] offset:24
	s_nop 0
	flat_load_dword v13, v[6:7] offset:8
	s_waitcnt vmcnt(0) lgkmcnt(0)
	v_dot4c_i32_i8_e32 v14, v12, v13
	s_nop 2
	flat_store_dword v[8:9], v14 offset:200
	flat_load_dword v12, v[4:5] offset:24
	flat_load_dword v13, v[6:7] offset:12
	s_waitcnt vmcnt(0) lgkmcnt(0)
	v_dot4c_i32_i8_e32 v15, v12, v13
	s_nop 2
	flat_store_dword v[8:9], v15 offset:204
	flat_load_dword v12, v[4:5] offset:28
	flat_load_dword v13, v[6:7]
	s_waitcnt vmcnt(0) lgkmcnt(0)
	v_dot4c_i32_i8_e32 v16, v12, v13
	s_nop 2
	flat_store_dword v[8:9], v16 offset:224
	flat_load_dword v12, v[4:5] offset:28
	flat_load_dword v13, v[6:7] offset:4
	s_waitcnt vmcnt(0) lgkmcnt(0)
	v_dot4c_i32_i8_e32 v17, v12, v13
	s_nop 2
	flat_store_dword v[8:9], v17 offset:228
	flat_load_dword v12, v[4:5] offset:28
	flat_load_dword v13, v[6:7] offset:8
	;; [unrolled: 6-line block ×3, first 2 shown]
	s_waitcnt vmcnt(0) lgkmcnt(0)
	v_dot4c_i32_i8_e32 v19, v12, v13
	s_nop 2
	flat_store_dword v[8:9], v19 offset:236
	flat_load_dword v12, v[0:1] offset:48
	flat_load_dwordx2 v[14:15], v[10:11]
	s_waitcnt vmcnt(0) lgkmcnt(0)
	v_ashrrev_i32_e32 v13, 31, v12
	v_lshl_add_u64 v[12:13], v[14:15], 0, v[12:13]
	v_add_co_u32_e32 v16, vcc, s0, v12
	s_nop 1
	v_addc_co_u32_e32 v17, vcc, 0, v13, vcc
	flat_load_dwordx4 v[12:15], v[16:17] offset:1536
	flat_load_dword v20, v[6:7] offset:16
	s_waitcnt vmcnt(0) lgkmcnt(0)
	flat_store_dwordx4 v[6:7], v[12:15]
	flat_load_dword v21, v[4:5] offset:16
	s_nop 0
	flat_load_dwordx4 v[12:15], v[8:9] offset:144
	flat_load_dwordx4 v[16:19], v[8:9] offset:176
	s_waitcnt vmcnt(0) lgkmcnt(0)
	v_dot4c_i32_i8_e32 v12, v21, v20
	s_nop 2
	flat_store_dword v[8:9], v12 offset:144
	flat_load_dword v12, v[4:5] offset:16
	s_nop 0
	flat_load_dword v20, v[6:7] offset:20
	s_waitcnt vmcnt(0) lgkmcnt(0)
	v_dot4c_i32_i8_e32 v13, v12, v20
	s_nop 2
	flat_store_dword v[8:9], v13 offset:148
	flat_load_dword v12, v[4:5] offset:16
	s_nop 0
	flat_load_dword v13, v[6:7] offset:24
	s_waitcnt vmcnt(0) lgkmcnt(0)
	v_dot4c_i32_i8_e32 v14, v12, v13
	s_nop 2
	flat_store_dword v[8:9], v14 offset:152
	flat_load_dword v12, v[4:5] offset:16
	flat_load_dword v13, v[6:7] offset:28
	s_waitcnt vmcnt(0) lgkmcnt(0)
	v_dot4c_i32_i8_e32 v15, v12, v13
	s_nop 2
	flat_store_dword v[8:9], v15 offset:156
	flat_load_dword v12, v[4:5] offset:20
	;; [unrolled: 6-line block ×6, first 2 shown]
	flat_load_dword v21, v[6:7] offset:16
	flat_load_dwordx4 v[12:15], v[8:9] offset:208
	s_nop 0
	flat_load_dwordx4 v[16:19], v[8:9] offset:240
	s_waitcnt vmcnt(0) lgkmcnt(0)
	v_dot4c_i32_i8_e32 v12, v20, v21
	s_nop 2
	flat_store_dword v[8:9], v12 offset:208
	flat_load_dword v12, v[4:5] offset:24
	s_nop 0
	flat_load_dword v20, v[6:7] offset:20
	s_waitcnt vmcnt(0) lgkmcnt(0)
	v_dot4c_i32_i8_e32 v13, v12, v20
	s_nop 2
	flat_store_dword v[8:9], v13 offset:212
	flat_load_dword v12, v[4:5] offset:24
	s_nop 0
	flat_load_dword v13, v[6:7] offset:24
	s_waitcnt vmcnt(0) lgkmcnt(0)
	v_dot4c_i32_i8_e32 v14, v12, v13
	s_nop 2
	flat_store_dword v[8:9], v14 offset:216
	flat_load_dword v12, v[4:5] offset:24
	flat_load_dword v13, v[6:7] offset:28
	s_waitcnt vmcnt(0) lgkmcnt(0)
	v_dot4c_i32_i8_e32 v15, v12, v13
	s_nop 2
	flat_store_dword v[8:9], v15 offset:220
	flat_load_dword v12, v[4:5] offset:28
	;; [unrolled: 6-line block ×6, first 2 shown]
	flat_load_dwordx2 v[14:15], v[10:11]
	s_waitcnt vmcnt(0) lgkmcnt(0)
	v_ashrrev_i32_e32 v13, 31, v12
	v_lshl_add_u64 v[12:13], v[14:15], 0, v[12:13]
	v_add_co_u32_e32 v12, vcc, s0, v12
	s_nop 1
	v_addc_co_u32_e32 v13, vcc, 0, v13, vcc
	flat_load_dwordx4 v[12:15], v[12:13] offset:1792
	s_waitcnt vmcnt(0) lgkmcnt(0)
	flat_store_dwordx4 v[6:7], v[12:15] offset:16
	flat_load_dword v12, v[0:1] offset:16
	s_nop 0
	flat_load_dwordx2 v[14:15], v[2:3]
	s_waitcnt vmcnt(0) lgkmcnt(0)
	v_ashrrev_i32_e32 v13, 31, v12
	v_lshl_add_u64 v[12:13], v[14:15], 0, v[12:13]
	v_add_co_u32_e32 v16, vcc, s0, v12
	s_nop 1
	v_addc_co_u32_e32 v17, vcc, 0, v13, vcc
	flat_load_dwordx4 v[12:15], v[16:17] offset:1792
	flat_load_dword v20, v[4:5]
	s_waitcnt vmcnt(0) lgkmcnt(0)
	flat_store_dwordx4 v[4:5], v[12:15] offset:16
	flat_load_dword v21, v[6:7]
	flat_load_dwordx4 v[16:19], v[8:9]
	s_nop 0
	flat_load_dwordx4 v[12:15], v[8:9] offset:16
	s_waitcnt vmcnt(0) lgkmcnt(0)
	v_dot4c_i32_i8_e32 v16, v20, v21
	s_nop 2
	flat_store_dword v[8:9], v16
	flat_load_dword v16, v[4:5]
	s_nop 0
	flat_load_dword v20, v[6:7] offset:4
	s_waitcnt vmcnt(0) lgkmcnt(0)
	v_dot4c_i32_i8_e32 v17, v16, v20
	s_nop 2
	flat_store_dword v[8:9], v17 offset:4
	flat_load_dword v16, v[4:5]
	s_nop 0
	flat_load_dword v17, v[6:7] offset:8
	s_waitcnt vmcnt(0) lgkmcnt(0)
	v_dot4c_i32_i8_e32 v18, v16, v17
	s_nop 2
	flat_store_dword v[8:9], v18 offset:8
	flat_load_dword v16, v[4:5]
	flat_load_dword v17, v[6:7] offset:12
	s_waitcnt vmcnt(0) lgkmcnt(0)
	v_dot4c_i32_i8_e32 v19, v16, v17
	s_nop 2
	flat_store_dword v[8:9], v19 offset:12
	flat_load_dword v24, v[4:5] offset:4
	flat_load_dword v25, v[6:7]
	s_nop 0
	flat_load_dwordx4 v[16:19], v[8:9] offset:32
	flat_load_dwordx4 v[20:23], v[8:9] offset:48
	s_waitcnt vmcnt(0) lgkmcnt(0)
	v_dot4c_i32_i8_e32 v16, v24, v25
	s_nop 2
	flat_store_dword v[8:9], v16 offset:32
	flat_load_dword v16, v[4:5] offset:4
	s_nop 0
	flat_load_dword v24, v[6:7] offset:4
	s_waitcnt vmcnt(0) lgkmcnt(0)
	v_dot4c_i32_i8_e32 v17, v16, v24
	s_nop 2
	flat_store_dword v[8:9], v17 offset:36
	flat_load_dword v16, v[4:5] offset:4
	s_nop 0
	flat_load_dword v17, v[6:7] offset:8
	s_waitcnt vmcnt(0) lgkmcnt(0)
	v_dot4c_i32_i8_e32 v18, v16, v17
	s_nop 2
	flat_store_dword v[8:9], v18 offset:40
	flat_load_dword v16, v[4:5] offset:4
	flat_load_dword v17, v[6:7] offset:12
	s_waitcnt vmcnt(0) lgkmcnt(0)
	v_dot4c_i32_i8_e32 v19, v16, v17
	s_nop 2
	flat_store_dword v[8:9], v19 offset:44
	flat_load_dword v28, v[4:5] offset:8
	flat_load_dword v29, v[6:7]
	s_nop 0
	flat_load_dwordx4 v[16:19], v[8:9] offset:64
	flat_load_dwordx4 v[24:27], v[8:9] offset:80
	s_waitcnt vmcnt(0) lgkmcnt(0)
	v_dot4c_i32_i8_e32 v16, v28, v29
	s_nop 2
	flat_store_dword v[8:9], v16 offset:64
	flat_load_dword v16, v[4:5] offset:8
	s_nop 0
	flat_load_dword v28, v[6:7] offset:4
	s_waitcnt vmcnt(0) lgkmcnt(0)
	v_dot4c_i32_i8_e32 v17, v16, v28
	s_nop 2
	flat_store_dword v[8:9], v17 offset:68
	flat_load_dword v16, v[4:5] offset:8
	s_nop 0
	flat_load_dword v17, v[6:7] offset:8
	s_waitcnt vmcnt(0) lgkmcnt(0)
	v_dot4c_i32_i8_e32 v18, v16, v17
	s_nop 2
	flat_store_dword v[8:9], v18 offset:72
	flat_load_dword v16, v[4:5] offset:8
	;; [unrolled: 29-line block ×3, first 2 shown]
	flat_load_dword v17, v[6:7] offset:12
	s_waitcnt vmcnt(0) lgkmcnt(0)
	v_dot4c_i32_i8_e32 v19, v16, v17
	s_nop 2
	flat_store_dword v[8:9], v19 offset:108
	flat_load_dword v16, v[4:5]
	flat_load_dword v17, v[6:7] offset:16
	s_waitcnt vmcnt(0) lgkmcnt(0)
	v_dot4c_i32_i8_e32 v12, v16, v17
	s_nop 2
	flat_store_dword v[8:9], v12 offset:16
	flat_load_dword v12, v[4:5]
	s_nop 0
	flat_load_dword v16, v[6:7] offset:20
	s_waitcnt vmcnt(0) lgkmcnt(0)
	v_dot4c_i32_i8_e32 v13, v12, v16
	s_nop 2
	flat_store_dword v[8:9], v13 offset:20
	flat_load_dword v12, v[4:5]
	s_nop 0
	flat_load_dword v13, v[6:7] offset:24
	s_waitcnt vmcnt(0) lgkmcnt(0)
	v_dot4c_i32_i8_e32 v14, v12, v13
	s_nop 2
	flat_store_dword v[8:9], v14 offset:24
	flat_load_dword v12, v[4:5]
	flat_load_dword v13, v[6:7] offset:28
	s_waitcnt vmcnt(0) lgkmcnt(0)
	v_dot4c_i32_i8_e32 v15, v12, v13
	s_nop 2
	flat_store_dword v[8:9], v15 offset:28
	flat_load_dword v12, v[4:5] offset:4
	flat_load_dword v13, v[6:7] offset:16
	s_waitcnt vmcnt(0) lgkmcnt(0)
	v_dot4c_i32_i8_e32 v20, v12, v13
	s_nop 2
	flat_store_dword v[8:9], v20 offset:48
	flat_load_dword v12, v[4:5] offset:4
	flat_load_dword v13, v[6:7] offset:20
	s_waitcnt vmcnt(0) lgkmcnt(0)
	v_dot4c_i32_i8_e32 v21, v12, v13
	s_nop 2
	flat_store_dword v[8:9], v21 offset:52
	flat_load_dword v12, v[4:5] offset:4
	flat_load_dword v13, v[6:7] offset:24
	s_waitcnt vmcnt(0) lgkmcnt(0)
	v_dot4c_i32_i8_e32 v22, v12, v13
	s_nop 2
	flat_store_dword v[8:9], v22 offset:56
	flat_load_dword v12, v[4:5] offset:4
	flat_load_dword v13, v[6:7] offset:28
	s_waitcnt vmcnt(0) lgkmcnt(0)
	v_dot4c_i32_i8_e32 v23, v12, v13
	s_nop 2
	flat_store_dword v[8:9], v23 offset:60
	flat_load_dword v12, v[4:5] offset:8
	flat_load_dword v13, v[6:7] offset:16
	s_waitcnt vmcnt(0) lgkmcnt(0)
	v_dot4c_i32_i8_e32 v24, v12, v13
	s_nop 2
	flat_store_dword v[8:9], v24 offset:80
	flat_load_dword v12, v[4:5] offset:8
	flat_load_dword v13, v[6:7] offset:20
	s_waitcnt vmcnt(0) lgkmcnt(0)
	v_dot4c_i32_i8_e32 v25, v12, v13
	s_nop 2
	flat_store_dword v[8:9], v25 offset:84
	flat_load_dword v12, v[4:5] offset:8
	flat_load_dword v13, v[6:7] offset:24
	s_waitcnt vmcnt(0) lgkmcnt(0)
	v_dot4c_i32_i8_e32 v26, v12, v13
	s_nop 2
	flat_store_dword v[8:9], v26 offset:88
	flat_load_dword v12, v[4:5] offset:8
	flat_load_dword v13, v[6:7] offset:28
	s_waitcnt vmcnt(0) lgkmcnt(0)
	v_dot4c_i32_i8_e32 v27, v12, v13
	s_nop 2
	flat_store_dword v[8:9], v27 offset:92
	flat_load_dword v12, v[4:5] offset:12
	flat_load_dword v13, v[6:7] offset:16
	s_waitcnt vmcnt(0) lgkmcnt(0)
	v_dot4c_i32_i8_e32 v28, v12, v13
	s_nop 2
	flat_store_dword v[8:9], v28 offset:112
	flat_load_dword v12, v[4:5] offset:12
	flat_load_dword v13, v[6:7] offset:20
	s_waitcnt vmcnt(0) lgkmcnt(0)
	v_dot4c_i32_i8_e32 v29, v12, v13
	s_nop 2
	flat_store_dword v[8:9], v29 offset:116
	flat_load_dword v12, v[4:5] offset:12
	flat_load_dword v13, v[6:7] offset:24
	s_waitcnt vmcnt(0) lgkmcnt(0)
	v_dot4c_i32_i8_e32 v30, v12, v13
	s_nop 2
	flat_store_dword v[8:9], v30 offset:120
	flat_load_dword v12, v[4:5] offset:12
	flat_load_dword v13, v[6:7] offset:28
	s_waitcnt vmcnt(0) lgkmcnt(0)
	v_dot4c_i32_i8_e32 v31, v12, v13
	s_nop 2
	flat_store_dword v[8:9], v31 offset:124
	flat_load_dword v12, v[0:1] offset:16
	flat_load_dwordx2 v[14:15], v[2:3]
	s_waitcnt vmcnt(0) lgkmcnt(0)
	v_ashrrev_i32_e32 v13, 31, v12
	v_lshl_add_u64 v[12:13], v[14:15], 0, v[12:13]
	v_add_co_u32_e32 v16, vcc, s0, v12
	s_nop 1
	v_addc_co_u32_e32 v17, vcc, 0, v13, vcc
	flat_load_dwordx4 v[12:15], v[16:17] offset:2048
	flat_load_dword v20, v[4:5] offset:16
	s_waitcnt vmcnt(0) lgkmcnt(0)
	flat_store_dwordx4 v[4:5], v[12:15]
	flat_load_dword v21, v[6:7]
	s_nop 0
	flat_load_dwordx4 v[12:15], v[8:9] offset:128
	flat_load_dwordx4 v[16:19], v[8:9] offset:160
	s_waitcnt vmcnt(0) lgkmcnt(0)
	v_dot4c_i32_i8_e32 v12, v20, v21
	s_nop 2
	flat_store_dword v[8:9], v12 offset:128
	flat_load_dword v12, v[4:5] offset:16
	s_nop 0
	flat_load_dword v20, v[6:7] offset:4
	s_waitcnt vmcnt(0) lgkmcnt(0)
	v_dot4c_i32_i8_e32 v13, v12, v20
	s_nop 2
	flat_store_dword v[8:9], v13 offset:132
	flat_load_dword v12, v[4:5] offset:16
	s_nop 0
	flat_load_dword v13, v[6:7] offset:8
	s_waitcnt vmcnt(0) lgkmcnt(0)
	v_dot4c_i32_i8_e32 v14, v12, v13
	s_nop 2
	flat_store_dword v[8:9], v14 offset:136
	flat_load_dword v12, v[4:5] offset:16
	flat_load_dword v13, v[6:7] offset:12
	s_waitcnt vmcnt(0) lgkmcnt(0)
	v_dot4c_i32_i8_e32 v15, v12, v13
	s_nop 2
	flat_store_dword v[8:9], v15 offset:140
	flat_load_dword v12, v[4:5] offset:20
	flat_load_dword v13, v[6:7]
	s_waitcnt vmcnt(0) lgkmcnt(0)
	v_dot4c_i32_i8_e32 v16, v12, v13
	s_nop 2
	flat_store_dword v[8:9], v16 offset:160
	flat_load_dword v12, v[4:5] offset:20
	flat_load_dword v13, v[6:7] offset:4
	s_waitcnt vmcnt(0) lgkmcnt(0)
	v_dot4c_i32_i8_e32 v17, v12, v13
	s_nop 2
	flat_store_dword v[8:9], v17 offset:164
	flat_load_dword v12, v[4:5] offset:20
	flat_load_dword v13, v[6:7] offset:8
	;; [unrolled: 6-line block ×3, first 2 shown]
	s_waitcnt vmcnt(0) lgkmcnt(0)
	v_dot4c_i32_i8_e32 v19, v12, v13
	s_nop 2
	flat_store_dword v[8:9], v19 offset:172
	flat_load_dword v20, v[4:5] offset:24
	flat_load_dword v21, v[6:7]
	flat_load_dwordx4 v[12:15], v[8:9] offset:192
	s_nop 0
	flat_load_dwordx4 v[16:19], v[8:9] offset:224
	s_waitcnt vmcnt(0) lgkmcnt(0)
	v_dot4c_i32_i8_e32 v12, v20, v21
	s_nop 2
	flat_store_dword v[8:9], v12 offset:192
	flat_load_dword v12, v[4:5] offset:24
	s_nop 0
	flat_load_dword v20, v[6:7] offset:4
	s_waitcnt vmcnt(0) lgkmcnt(0)
	v_dot4c_i32_i8_e32 v13, v12, v20
	s_nop 2
	flat_store_dword v[8:9], v13 offset:196
	flat_load_dword v12, v[4:5] offset:24
	s_nop 0
	flat_load_dword v13, v[6:7] offset:8
	s_waitcnt vmcnt(0) lgkmcnt(0)
	v_dot4c_i32_i8_e32 v14, v12, v13
	s_nop 2
	flat_store_dword v[8:9], v14 offset:200
	flat_load_dword v12, v[4:5] offset:24
	flat_load_dword v13, v[6:7] offset:12
	s_waitcnt vmcnt(0) lgkmcnt(0)
	v_dot4c_i32_i8_e32 v15, v12, v13
	s_nop 2
	flat_store_dword v[8:9], v15 offset:204
	flat_load_dword v12, v[4:5] offset:28
	flat_load_dword v13, v[6:7]
	s_waitcnt vmcnt(0) lgkmcnt(0)
	v_dot4c_i32_i8_e32 v16, v12, v13
	s_nop 2
	flat_store_dword v[8:9], v16 offset:224
	flat_load_dword v12, v[4:5] offset:28
	flat_load_dword v13, v[6:7] offset:4
	s_waitcnt vmcnt(0) lgkmcnt(0)
	v_dot4c_i32_i8_e32 v17, v12, v13
	s_nop 2
	flat_store_dword v[8:9], v17 offset:228
	flat_load_dword v12, v[4:5] offset:28
	flat_load_dword v13, v[6:7] offset:8
	;; [unrolled: 6-line block ×3, first 2 shown]
	s_waitcnt vmcnt(0) lgkmcnt(0)
	v_dot4c_i32_i8_e32 v19, v12, v13
	s_nop 2
	flat_store_dword v[8:9], v19 offset:236
	flat_load_dword v12, v[0:1] offset:48
	flat_load_dwordx2 v[14:15], v[10:11]
	s_waitcnt vmcnt(0) lgkmcnt(0)
	v_ashrrev_i32_e32 v13, 31, v12
	v_lshl_add_u64 v[12:13], v[14:15], 0, v[12:13]
	v_add_co_u32_e32 v16, vcc, s0, v12
	s_nop 1
	v_addc_co_u32_e32 v17, vcc, 0, v13, vcc
	flat_load_dwordx4 v[12:15], v[16:17] offset:2048
	flat_load_dword v20, v[6:7] offset:16
	s_waitcnt vmcnt(0) lgkmcnt(0)
	flat_store_dwordx4 v[6:7], v[12:15]
	flat_load_dword v21, v[4:5] offset:16
	s_nop 0
	flat_load_dwordx4 v[12:15], v[8:9] offset:144
	flat_load_dwordx4 v[16:19], v[8:9] offset:176
	s_waitcnt vmcnt(0) lgkmcnt(0)
	v_dot4c_i32_i8_e32 v12, v21, v20
	s_nop 2
	flat_store_dword v[8:9], v12 offset:144
	flat_load_dword v12, v[4:5] offset:16
	s_nop 0
	flat_load_dword v20, v[6:7] offset:20
	s_waitcnt vmcnt(0) lgkmcnt(0)
	v_dot4c_i32_i8_e32 v13, v12, v20
	s_nop 2
	flat_store_dword v[8:9], v13 offset:148
	flat_load_dword v12, v[4:5] offset:16
	s_nop 0
	flat_load_dword v13, v[6:7] offset:24
	s_waitcnt vmcnt(0) lgkmcnt(0)
	v_dot4c_i32_i8_e32 v14, v12, v13
	s_nop 2
	flat_store_dword v[8:9], v14 offset:152
	flat_load_dword v12, v[4:5] offset:16
	flat_load_dword v13, v[6:7] offset:28
	s_waitcnt vmcnt(0) lgkmcnt(0)
	v_dot4c_i32_i8_e32 v15, v12, v13
	s_nop 2
	flat_store_dword v[8:9], v15 offset:156
	flat_load_dword v12, v[4:5] offset:20
	;; [unrolled: 6-line block ×6, first 2 shown]
	flat_load_dword v21, v[6:7] offset:16
	flat_load_dwordx4 v[12:15], v[8:9] offset:208
	s_nop 0
	flat_load_dwordx4 v[16:19], v[8:9] offset:240
	s_waitcnt vmcnt(0) lgkmcnt(0)
	v_dot4c_i32_i8_e32 v12, v20, v21
	s_nop 2
	flat_store_dword v[8:9], v12 offset:208
	flat_load_dword v12, v[4:5] offset:24
	s_nop 0
	flat_load_dword v20, v[6:7] offset:20
	s_waitcnt vmcnt(0) lgkmcnt(0)
	v_dot4c_i32_i8_e32 v13, v12, v20
	s_nop 2
	flat_store_dword v[8:9], v13 offset:212
	flat_load_dword v12, v[4:5] offset:24
	s_nop 0
	flat_load_dword v13, v[6:7] offset:24
	s_waitcnt vmcnt(0) lgkmcnt(0)
	v_dot4c_i32_i8_e32 v14, v12, v13
	s_nop 2
	flat_store_dword v[8:9], v14 offset:216
	flat_load_dword v12, v[4:5] offset:24
	flat_load_dword v13, v[6:7] offset:28
	s_waitcnt vmcnt(0) lgkmcnt(0)
	v_dot4c_i32_i8_e32 v15, v12, v13
	s_nop 2
	flat_store_dword v[8:9], v15 offset:220
	flat_load_dword v12, v[4:5] offset:28
	;; [unrolled: 6-line block ×6, first 2 shown]
	flat_load_dwordx2 v[14:15], v[10:11]
	s_waitcnt vmcnt(0) lgkmcnt(0)
	v_ashrrev_i32_e32 v13, 31, v12
	v_lshl_add_u64 v[12:13], v[14:15], 0, v[12:13]
	v_add_co_u32_e32 v12, vcc, s0, v12
	s_nop 1
	v_addc_co_u32_e32 v13, vcc, 0, v13, vcc
	flat_load_dwordx4 v[12:15], v[12:13] offset:2304
	s_waitcnt vmcnt(0) lgkmcnt(0)
	flat_store_dwordx4 v[6:7], v[12:15] offset:16
	flat_load_dword v12, v[0:1] offset:16
	s_nop 0
	flat_load_dwordx2 v[14:15], v[2:3]
	s_waitcnt vmcnt(0) lgkmcnt(0)
	v_ashrrev_i32_e32 v13, 31, v12
	v_lshl_add_u64 v[12:13], v[14:15], 0, v[12:13]
	v_add_co_u32_e32 v16, vcc, s0, v12
	s_nop 1
	v_addc_co_u32_e32 v17, vcc, 0, v13, vcc
	flat_load_dwordx4 v[12:15], v[16:17] offset:2304
	flat_load_dword v20, v[4:5]
	s_waitcnt vmcnt(0) lgkmcnt(0)
	flat_store_dwordx4 v[4:5], v[12:15] offset:16
	flat_load_dword v21, v[6:7]
	flat_load_dwordx4 v[16:19], v[8:9]
	s_nop 0
	flat_load_dwordx4 v[12:15], v[8:9] offset:16
	s_waitcnt vmcnt(0) lgkmcnt(0)
	v_dot4c_i32_i8_e32 v16, v20, v21
	s_nop 2
	flat_store_dword v[8:9], v16
	flat_load_dword v16, v[4:5]
	s_nop 0
	flat_load_dword v20, v[6:7] offset:4
	s_waitcnt vmcnt(0) lgkmcnt(0)
	v_dot4c_i32_i8_e32 v17, v16, v20
	s_nop 2
	flat_store_dword v[8:9], v17 offset:4
	flat_load_dword v16, v[4:5]
	s_nop 0
	flat_load_dword v17, v[6:7] offset:8
	s_waitcnt vmcnt(0) lgkmcnt(0)
	v_dot4c_i32_i8_e32 v18, v16, v17
	s_nop 2
	flat_store_dword v[8:9], v18 offset:8
	flat_load_dword v16, v[4:5]
	flat_load_dword v17, v[6:7] offset:12
	s_waitcnt vmcnt(0) lgkmcnt(0)
	v_dot4c_i32_i8_e32 v19, v16, v17
	s_nop 2
	flat_store_dword v[8:9], v19 offset:12
	flat_load_dword v24, v[4:5] offset:4
	flat_load_dword v25, v[6:7]
	s_nop 0
	flat_load_dwordx4 v[16:19], v[8:9] offset:32
	flat_load_dwordx4 v[20:23], v[8:9] offset:48
	s_waitcnt vmcnt(0) lgkmcnt(0)
	v_dot4c_i32_i8_e32 v16, v24, v25
	s_nop 2
	flat_store_dword v[8:9], v16 offset:32
	flat_load_dword v16, v[4:5] offset:4
	s_nop 0
	flat_load_dword v24, v[6:7] offset:4
	s_waitcnt vmcnt(0) lgkmcnt(0)
	v_dot4c_i32_i8_e32 v17, v16, v24
	s_nop 2
	flat_store_dword v[8:9], v17 offset:36
	flat_load_dword v16, v[4:5] offset:4
	s_nop 0
	flat_load_dword v17, v[6:7] offset:8
	s_waitcnt vmcnt(0) lgkmcnt(0)
	v_dot4c_i32_i8_e32 v18, v16, v17
	s_nop 2
	flat_store_dword v[8:9], v18 offset:40
	flat_load_dword v16, v[4:5] offset:4
	flat_load_dword v17, v[6:7] offset:12
	s_waitcnt vmcnt(0) lgkmcnt(0)
	v_dot4c_i32_i8_e32 v19, v16, v17
	s_nop 2
	flat_store_dword v[8:9], v19 offset:44
	flat_load_dword v28, v[4:5] offset:8
	flat_load_dword v29, v[6:7]
	s_nop 0
	flat_load_dwordx4 v[16:19], v[8:9] offset:64
	flat_load_dwordx4 v[24:27], v[8:9] offset:80
	s_waitcnt vmcnt(0) lgkmcnt(0)
	v_dot4c_i32_i8_e32 v16, v28, v29
	s_nop 2
	flat_store_dword v[8:9], v16 offset:64
	flat_load_dword v16, v[4:5] offset:8
	s_nop 0
	flat_load_dword v28, v[6:7] offset:4
	s_waitcnt vmcnt(0) lgkmcnt(0)
	v_dot4c_i32_i8_e32 v17, v16, v28
	s_nop 2
	flat_store_dword v[8:9], v17 offset:68
	flat_load_dword v16, v[4:5] offset:8
	s_nop 0
	flat_load_dword v17, v[6:7] offset:8
	s_waitcnt vmcnt(0) lgkmcnt(0)
	v_dot4c_i32_i8_e32 v18, v16, v17
	s_nop 2
	flat_store_dword v[8:9], v18 offset:72
	flat_load_dword v16, v[4:5] offset:8
	;; [unrolled: 29-line block ×3, first 2 shown]
	flat_load_dword v17, v[6:7] offset:12
	s_waitcnt vmcnt(0) lgkmcnt(0)
	v_dot4c_i32_i8_e32 v19, v16, v17
	s_nop 2
	flat_store_dword v[8:9], v19 offset:108
	flat_load_dword v16, v[4:5]
	flat_load_dword v17, v[6:7] offset:16
	s_waitcnt vmcnt(0) lgkmcnt(0)
	v_dot4c_i32_i8_e32 v12, v16, v17
	s_nop 2
	flat_store_dword v[8:9], v12 offset:16
	flat_load_dword v12, v[4:5]
	s_nop 0
	flat_load_dword v16, v[6:7] offset:20
	s_waitcnt vmcnt(0) lgkmcnt(0)
	v_dot4c_i32_i8_e32 v13, v12, v16
	s_nop 2
	flat_store_dword v[8:9], v13 offset:20
	flat_load_dword v12, v[4:5]
	s_nop 0
	flat_load_dword v13, v[6:7] offset:24
	s_waitcnt vmcnt(0) lgkmcnt(0)
	v_dot4c_i32_i8_e32 v14, v12, v13
	s_nop 2
	flat_store_dword v[8:9], v14 offset:24
	flat_load_dword v12, v[4:5]
	flat_load_dword v13, v[6:7] offset:28
	s_waitcnt vmcnt(0) lgkmcnt(0)
	v_dot4c_i32_i8_e32 v15, v12, v13
	s_nop 2
	flat_store_dword v[8:9], v15 offset:28
	flat_load_dword v12, v[4:5] offset:4
	flat_load_dword v13, v[6:7] offset:16
	s_waitcnt vmcnt(0) lgkmcnt(0)
	v_dot4c_i32_i8_e32 v20, v12, v13
	s_nop 2
	flat_store_dword v[8:9], v20 offset:48
	flat_load_dword v12, v[4:5] offset:4
	;; [unrolled: 6-line block ×13, first 2 shown]
	flat_load_dwordx2 v[14:15], v[2:3]
	s_waitcnt vmcnt(0) lgkmcnt(0)
	v_ashrrev_i32_e32 v13, 31, v12
	v_lshl_add_u64 v[12:13], v[14:15], 0, v[12:13]
	v_add_co_u32_e32 v16, vcc, s0, v12
	s_nop 1
	v_addc_co_u32_e32 v17, vcc, 0, v13, vcc
	flat_load_dwordx4 v[12:15], v[16:17] offset:2560
	flat_load_dword v20, v[4:5] offset:16
	s_waitcnt vmcnt(0) lgkmcnt(0)
	flat_store_dwordx4 v[4:5], v[12:15]
	flat_load_dword v21, v[6:7]
	s_nop 0
	flat_load_dwordx4 v[12:15], v[8:9] offset:128
	flat_load_dwordx4 v[16:19], v[8:9] offset:160
	s_waitcnt vmcnt(0) lgkmcnt(0)
	v_dot4c_i32_i8_e32 v12, v20, v21
	s_nop 2
	flat_store_dword v[8:9], v12 offset:128
	flat_load_dword v12, v[4:5] offset:16
	s_nop 0
	flat_load_dword v20, v[6:7] offset:4
	s_waitcnt vmcnt(0) lgkmcnt(0)
	v_dot4c_i32_i8_e32 v13, v12, v20
	s_nop 2
	flat_store_dword v[8:9], v13 offset:132
	flat_load_dword v12, v[4:5] offset:16
	s_nop 0
	flat_load_dword v13, v[6:7] offset:8
	s_waitcnt vmcnt(0) lgkmcnt(0)
	v_dot4c_i32_i8_e32 v14, v12, v13
	s_nop 2
	flat_store_dword v[8:9], v14 offset:136
	flat_load_dword v12, v[4:5] offset:16
	flat_load_dword v13, v[6:7] offset:12
	s_waitcnt vmcnt(0) lgkmcnt(0)
	v_dot4c_i32_i8_e32 v15, v12, v13
	s_nop 2
	flat_store_dword v[8:9], v15 offset:140
	flat_load_dword v12, v[4:5] offset:20
	flat_load_dword v13, v[6:7]
	s_waitcnt vmcnt(0) lgkmcnt(0)
	v_dot4c_i32_i8_e32 v16, v12, v13
	s_nop 2
	flat_store_dword v[8:9], v16 offset:160
	flat_load_dword v12, v[4:5] offset:20
	flat_load_dword v13, v[6:7] offset:4
	s_waitcnt vmcnt(0) lgkmcnt(0)
	v_dot4c_i32_i8_e32 v17, v12, v13
	s_nop 2
	flat_store_dword v[8:9], v17 offset:164
	flat_load_dword v12, v[4:5] offset:20
	flat_load_dword v13, v[6:7] offset:8
	;; [unrolled: 6-line block ×3, first 2 shown]
	s_waitcnt vmcnt(0) lgkmcnt(0)
	v_dot4c_i32_i8_e32 v19, v12, v13
	s_nop 2
	flat_store_dword v[8:9], v19 offset:172
	flat_load_dword v20, v[4:5] offset:24
	flat_load_dword v21, v[6:7]
	flat_load_dwordx4 v[12:15], v[8:9] offset:192
	s_nop 0
	flat_load_dwordx4 v[16:19], v[8:9] offset:224
	s_waitcnt vmcnt(0) lgkmcnt(0)
	v_dot4c_i32_i8_e32 v12, v20, v21
	s_nop 2
	flat_store_dword v[8:9], v12 offset:192
	flat_load_dword v12, v[4:5] offset:24
	s_nop 0
	flat_load_dword v20, v[6:7] offset:4
	s_waitcnt vmcnt(0) lgkmcnt(0)
	v_dot4c_i32_i8_e32 v13, v12, v20
	s_nop 2
	flat_store_dword v[8:9], v13 offset:196
	flat_load_dword v12, v[4:5] offset:24
	s_nop 0
	flat_load_dword v13, v[6:7] offset:8
	s_waitcnt vmcnt(0) lgkmcnt(0)
	v_dot4c_i32_i8_e32 v14, v12, v13
	s_nop 2
	flat_store_dword v[8:9], v14 offset:200
	flat_load_dword v12, v[4:5] offset:24
	flat_load_dword v13, v[6:7] offset:12
	s_waitcnt vmcnt(0) lgkmcnt(0)
	v_dot4c_i32_i8_e32 v15, v12, v13
	s_nop 2
	flat_store_dword v[8:9], v15 offset:204
	flat_load_dword v12, v[4:5] offset:28
	flat_load_dword v13, v[6:7]
	s_waitcnt vmcnt(0) lgkmcnt(0)
	v_dot4c_i32_i8_e32 v16, v12, v13
	s_nop 2
	flat_store_dword v[8:9], v16 offset:224
	flat_load_dword v12, v[4:5] offset:28
	flat_load_dword v13, v[6:7] offset:4
	s_waitcnt vmcnt(0) lgkmcnt(0)
	v_dot4c_i32_i8_e32 v17, v12, v13
	s_nop 2
	flat_store_dword v[8:9], v17 offset:228
	flat_load_dword v12, v[4:5] offset:28
	flat_load_dword v13, v[6:7] offset:8
	;; [unrolled: 6-line block ×3, first 2 shown]
	s_waitcnt vmcnt(0) lgkmcnt(0)
	v_dot4c_i32_i8_e32 v19, v12, v13
	s_nop 2
	flat_store_dword v[8:9], v19 offset:236
	flat_load_dword v12, v[0:1] offset:48
	flat_load_dwordx2 v[14:15], v[10:11]
	s_waitcnt vmcnt(0) lgkmcnt(0)
	v_ashrrev_i32_e32 v13, 31, v12
	v_lshl_add_u64 v[12:13], v[14:15], 0, v[12:13]
	v_add_co_u32_e32 v16, vcc, s0, v12
	s_nop 1
	v_addc_co_u32_e32 v17, vcc, 0, v13, vcc
	flat_load_dwordx4 v[12:15], v[16:17] offset:2560
	flat_load_dword v20, v[6:7] offset:16
	s_waitcnt vmcnt(0) lgkmcnt(0)
	flat_store_dwordx4 v[6:7], v[12:15]
	flat_load_dword v21, v[4:5] offset:16
	s_nop 0
	flat_load_dwordx4 v[12:15], v[8:9] offset:144
	flat_load_dwordx4 v[16:19], v[8:9] offset:176
	s_waitcnt vmcnt(0) lgkmcnt(0)
	v_dot4c_i32_i8_e32 v12, v21, v20
	s_nop 2
	flat_store_dword v[8:9], v12 offset:144
	flat_load_dword v12, v[4:5] offset:16
	s_nop 0
	flat_load_dword v20, v[6:7] offset:20
	s_waitcnt vmcnt(0) lgkmcnt(0)
	v_dot4c_i32_i8_e32 v13, v12, v20
	s_nop 2
	flat_store_dword v[8:9], v13 offset:148
	flat_load_dword v12, v[4:5] offset:16
	s_nop 0
	flat_load_dword v13, v[6:7] offset:24
	s_waitcnt vmcnt(0) lgkmcnt(0)
	v_dot4c_i32_i8_e32 v14, v12, v13
	s_nop 2
	flat_store_dword v[8:9], v14 offset:152
	flat_load_dword v12, v[4:5] offset:16
	flat_load_dword v13, v[6:7] offset:28
	s_waitcnt vmcnt(0) lgkmcnt(0)
	v_dot4c_i32_i8_e32 v15, v12, v13
	s_nop 2
	flat_store_dword v[8:9], v15 offset:156
	flat_load_dword v12, v[4:5] offset:20
	flat_load_dword v13, v[6:7] offset:16
	s_waitcnt vmcnt(0) lgkmcnt(0)
	v_dot4c_i32_i8_e32 v16, v12, v13
	s_nop 2
	flat_store_dword v[8:9], v16 offset:176
	flat_load_dword v12, v[4:5] offset:20
	flat_load_dword v13, v[6:7] offset:20
	s_waitcnt vmcnt(0) lgkmcnt(0)
	v_dot4c_i32_i8_e32 v17, v12, v13
	s_nop 2
	flat_store_dword v[8:9], v17 offset:180
	flat_load_dword v12, v[4:5] offset:20
	flat_load_dword v13, v[6:7] offset:24
	s_waitcnt vmcnt(0) lgkmcnt(0)
	v_dot4c_i32_i8_e32 v18, v12, v13
	s_nop 2
	flat_store_dword v[8:9], v18 offset:184
	flat_load_dword v12, v[4:5] offset:20
	flat_load_dword v13, v[6:7] offset:28
	s_waitcnt vmcnt(0) lgkmcnt(0)
	v_dot4c_i32_i8_e32 v19, v12, v13
	s_nop 2
	flat_store_dword v[8:9], v19 offset:188
	flat_load_dword v20, v[4:5] offset:24
	flat_load_dword v21, v[6:7] offset:16
	flat_load_dwordx4 v[12:15], v[8:9] offset:208
	s_nop 0
	flat_load_dwordx4 v[16:19], v[8:9] offset:240
	s_waitcnt vmcnt(0) lgkmcnt(0)
	v_dot4c_i32_i8_e32 v12, v20, v21
	s_nop 2
	flat_store_dword v[8:9], v12 offset:208
	flat_load_dword v12, v[4:5] offset:24
	s_nop 0
	flat_load_dword v20, v[6:7] offset:20
	s_waitcnt vmcnt(0) lgkmcnt(0)
	v_dot4c_i32_i8_e32 v13, v12, v20
	s_nop 2
	flat_store_dword v[8:9], v13 offset:212
	flat_load_dword v12, v[4:5] offset:24
	s_nop 0
	flat_load_dword v13, v[6:7] offset:24
	s_waitcnt vmcnt(0) lgkmcnt(0)
	v_dot4c_i32_i8_e32 v14, v12, v13
	s_nop 2
	flat_store_dword v[8:9], v14 offset:216
	flat_load_dword v12, v[4:5] offset:24
	flat_load_dword v13, v[6:7] offset:28
	s_waitcnt vmcnt(0) lgkmcnt(0)
	v_dot4c_i32_i8_e32 v15, v12, v13
	s_nop 2
	flat_store_dword v[8:9], v15 offset:220
	flat_load_dword v12, v[4:5] offset:28
	;; [unrolled: 6-line block ×6, first 2 shown]
	flat_load_dwordx2 v[14:15], v[10:11]
	s_waitcnt vmcnt(0) lgkmcnt(0)
	v_ashrrev_i32_e32 v13, 31, v12
	v_lshl_add_u64 v[12:13], v[14:15], 0, v[12:13]
	v_add_co_u32_e32 v12, vcc, s0, v12
	s_nop 1
	v_addc_co_u32_e32 v13, vcc, 0, v13, vcc
	flat_load_dwordx4 v[12:15], v[12:13] offset:2816
	s_waitcnt vmcnt(0) lgkmcnt(0)
	flat_store_dwordx4 v[6:7], v[12:15] offset:16
	flat_load_dword v12, v[0:1] offset:16
	s_nop 0
	flat_load_dwordx2 v[14:15], v[2:3]
	s_waitcnt vmcnt(0) lgkmcnt(0)
	v_ashrrev_i32_e32 v13, 31, v12
	v_lshl_add_u64 v[12:13], v[14:15], 0, v[12:13]
	v_add_co_u32_e32 v16, vcc, s0, v12
	s_nop 1
	v_addc_co_u32_e32 v17, vcc, 0, v13, vcc
	flat_load_dwordx4 v[12:15], v[16:17] offset:2816
	flat_load_dword v18, v[4:5]
	s_waitcnt vmcnt(0) lgkmcnt(0)
	flat_store_dwordx4 v[4:5], v[12:15] offset:16
	flat_load_dword v16, v[6:7]
	s_nop 0
	flat_load_dwordx4 v[12:15], v[8:9]
	s_waitcnt vmcnt(0) lgkmcnt(0)
	v_dot4c_i32_i8_e32 v12, v18, v16
	s_nop 2
	flat_store_dword v[8:9], v12
	flat_load_dword v12, v[4:5]
	s_nop 0
	flat_load_dword v16, v[6:7] offset:4
	s_waitcnt vmcnt(0) lgkmcnt(0)
	v_dot4c_i32_i8_e32 v13, v12, v16
	s_nop 2
	flat_store_dword v[8:9], v13 offset:4
	flat_load_dword v12, v[4:5]
	s_nop 0
	flat_load_dword v13, v[6:7] offset:8
	s_waitcnt vmcnt(0) lgkmcnt(0)
	v_dot4c_i32_i8_e32 v14, v12, v13
	s_nop 2
	flat_store_dword v[8:9], v14 offset:8
	flat_load_dword v12, v[4:5]
	flat_load_dword v13, v[6:7] offset:12
	flat_load_dwordx4 v[16:19], v[8:9] offset:32
	s_waitcnt vmcnt(0) lgkmcnt(0)
	v_dot4c_i32_i8_e32 v15, v12, v13
	s_nop 2
	flat_store_dword v[8:9], v15 offset:12
	flat_load_dword v12, v[4:5] offset:4
	flat_load_dword v13, v[6:7]
	s_waitcnt vmcnt(0) lgkmcnt(0)
	v_dot4c_i32_i8_e32 v16, v12, v13
	s_nop 2
	flat_store_dword v[8:9], v16 offset:32
	flat_load_dword v12, v[4:5] offset:4
	flat_load_dword v13, v[6:7] offset:4
	s_waitcnt vmcnt(0) lgkmcnt(0)
	v_dot4c_i32_i8_e32 v17, v12, v13
	s_nop 2
	flat_store_dword v[8:9], v17 offset:36
	flat_load_dword v12, v[4:5] offset:4
	flat_load_dword v13, v[6:7] offset:8
	;; [unrolled: 6-line block ×3, first 2 shown]
	flat_load_dwordx4 v[12:15], v[8:9] offset:64
	s_waitcnt vmcnt(0) lgkmcnt(0)
	v_dot4c_i32_i8_e32 v19, v16, v17
	s_nop 2
	flat_store_dword v[8:9], v19 offset:44
	flat_load_dword v16, v[4:5] offset:8
	flat_load_dword v17, v[6:7]
	s_waitcnt vmcnt(0) lgkmcnt(0)
	v_dot4c_i32_i8_e32 v12, v16, v17
	s_nop 2
	flat_store_dword v[8:9], v12 offset:64
	flat_load_dword v12, v[4:5] offset:8
	s_nop 0
	flat_load_dword v16, v[6:7] offset:4
	s_waitcnt vmcnt(0) lgkmcnt(0)
	v_dot4c_i32_i8_e32 v13, v12, v16
	s_nop 2
	flat_store_dword v[8:9], v13 offset:68
	flat_load_dword v12, v[4:5] offset:8
	s_nop 0
	flat_load_dword v13, v[6:7] offset:8
	s_waitcnt vmcnt(0) lgkmcnt(0)
	v_dot4c_i32_i8_e32 v14, v12, v13
	s_nop 2
	flat_store_dword v[8:9], v14 offset:72
	flat_load_dword v12, v[4:5] offset:8
	flat_load_dword v13, v[6:7] offset:12
	flat_load_dwordx4 v[16:19], v[8:9] offset:96
	s_waitcnt vmcnt(0) lgkmcnt(0)
	v_dot4c_i32_i8_e32 v15, v12, v13
	s_nop 2
	flat_store_dword v[8:9], v15 offset:76
	flat_load_dword v12, v[4:5] offset:12
	flat_load_dword v13, v[6:7]
	s_waitcnt vmcnt(0) lgkmcnt(0)
	v_dot4c_i32_i8_e32 v16, v12, v13
	s_nop 2
	flat_store_dword v[8:9], v16 offset:96
	flat_load_dword v12, v[4:5] offset:12
	flat_load_dword v13, v[6:7] offset:4
	s_waitcnt vmcnt(0) lgkmcnt(0)
	v_dot4c_i32_i8_e32 v17, v12, v13
	s_nop 2
	flat_store_dword v[8:9], v17 offset:100
	flat_load_dword v12, v[4:5] offset:12
	flat_load_dword v13, v[6:7] offset:8
	;; [unrolled: 6-line block ×3, first 2 shown]
	s_waitcnt vmcnt(0) lgkmcnt(0)
	v_dot4c_i32_i8_e32 v19, v12, v13
	s_nop 2
	flat_store_dword v[8:9], v19 offset:108
	flat_load_dword v16, v[4:5]
	flat_load_dword v17, v[6:7] offset:16
	flat_load_dwordx4 v[12:15], v[8:9] offset:16
	s_waitcnt vmcnt(0) lgkmcnt(0)
	v_dot4c_i32_i8_e32 v12, v16, v17
	s_nop 2
	flat_store_dword v[8:9], v12 offset:16
	flat_load_dword v12, v[4:5]
	s_nop 0
	flat_load_dword v16, v[6:7] offset:20
	s_waitcnt vmcnt(0) lgkmcnt(0)
	v_dot4c_i32_i8_e32 v13, v12, v16
	s_nop 2
	flat_store_dword v[8:9], v13 offset:20
	flat_load_dword v12, v[4:5]
	s_nop 0
	flat_load_dword v13, v[6:7] offset:24
	s_waitcnt vmcnt(0) lgkmcnt(0)
	v_dot4c_i32_i8_e32 v14, v12, v13
	s_nop 2
	flat_store_dword v[8:9], v14 offset:24
	flat_load_dword v12, v[4:5]
	flat_load_dword v13, v[6:7] offset:28
	flat_load_dwordx4 v[16:19], v[8:9] offset:48
	s_waitcnt vmcnt(0) lgkmcnt(0)
	v_dot4c_i32_i8_e32 v15, v12, v13
	s_nop 2
	flat_store_dword v[8:9], v15 offset:28
	flat_load_dword v12, v[4:5] offset:4
	flat_load_dword v13, v[6:7] offset:16
	s_waitcnt vmcnt(0) lgkmcnt(0)
	v_dot4c_i32_i8_e32 v16, v12, v13
	s_nop 2
	flat_store_dword v[8:9], v16 offset:48
	flat_load_dword v12, v[4:5] offset:4
	flat_load_dword v13, v[6:7] offset:20
	;; [unrolled: 6-line block ×4, first 2 shown]
	flat_load_dwordx4 v[12:15], v[8:9] offset:80
	s_waitcnt vmcnt(0) lgkmcnt(0)
	v_dot4c_i32_i8_e32 v19, v16, v17
	s_nop 2
	flat_store_dword v[8:9], v19 offset:60
	flat_load_dword v16, v[4:5] offset:8
	flat_load_dword v17, v[6:7] offset:16
	s_waitcnt vmcnt(0) lgkmcnt(0)
	v_dot4c_i32_i8_e32 v12, v16, v17
	s_nop 2
	flat_store_dword v[8:9], v12 offset:80
	flat_load_dword v12, v[4:5] offset:8
	s_nop 0
	flat_load_dword v16, v[6:7] offset:20
	s_waitcnt vmcnt(0) lgkmcnt(0)
	v_dot4c_i32_i8_e32 v13, v12, v16
	s_nop 2
	flat_store_dword v[8:9], v13 offset:84
	flat_load_dword v12, v[4:5] offset:8
	s_nop 0
	flat_load_dword v13, v[6:7] offset:24
	s_waitcnt vmcnt(0) lgkmcnt(0)
	v_dot4c_i32_i8_e32 v14, v12, v13
	s_nop 2
	flat_store_dword v[8:9], v14 offset:88
	flat_load_dword v12, v[4:5] offset:8
	flat_load_dword v13, v[6:7] offset:28
	flat_load_dwordx4 v[16:19], v[8:9] offset:112
	s_waitcnt vmcnt(0) lgkmcnt(0)
	v_dot4c_i32_i8_e32 v15, v12, v13
	s_nop 2
	flat_store_dword v[8:9], v15 offset:92
	flat_load_dword v12, v[4:5] offset:12
	flat_load_dword v13, v[6:7] offset:16
	s_waitcnt vmcnt(0) lgkmcnt(0)
	v_dot4c_i32_i8_e32 v16, v12, v13
	s_nop 2
	flat_store_dword v[8:9], v16 offset:112
	flat_load_dword v12, v[4:5] offset:12
	flat_load_dword v13, v[6:7] offset:20
	;; [unrolled: 6-line block ×4, first 2 shown]
	s_waitcnt vmcnt(0) lgkmcnt(0)
	v_dot4c_i32_i8_e32 v19, v12, v13
	s_nop 2
	flat_store_dword v[8:9], v19 offset:124
	flat_load_dword v12, v[0:1] offset:16
	flat_load_dwordx2 v[14:15], v[2:3]
	s_waitcnt vmcnt(0) lgkmcnt(0)
	v_ashrrev_i32_e32 v13, 31, v12
	v_lshl_add_u64 v[12:13], v[14:15], 0, v[12:13]
	v_add_co_u32_e32 v16, vcc, s0, v12
	s_nop 1
	v_addc_co_u32_e32 v17, vcc, 0, v13, vcc
	flat_load_dwordx4 v[12:15], v[16:17] offset:3072
	flat_load_dword v20, v[4:5] offset:16
	s_waitcnt vmcnt(0) lgkmcnt(0)
	flat_store_dwordx4 v[4:5], v[12:15]
	flat_load_dword v21, v[6:7]
	s_nop 0
	flat_load_dwordx4 v[12:15], v[8:9] offset:128
	flat_load_dwordx4 v[16:19], v[8:9] offset:160
	s_waitcnt vmcnt(0) lgkmcnt(0)
	v_dot4c_i32_i8_e32 v12, v20, v21
	s_nop 2
	flat_store_dword v[8:9], v12 offset:128
	flat_load_dword v12, v[4:5] offset:16
	s_nop 0
	flat_load_dword v20, v[6:7] offset:4
	s_waitcnt vmcnt(0) lgkmcnt(0)
	v_dot4c_i32_i8_e32 v13, v12, v20
	s_nop 2
	flat_store_dword v[8:9], v13 offset:132
	flat_load_dword v12, v[4:5] offset:16
	s_nop 0
	flat_load_dword v13, v[6:7] offset:8
	s_waitcnt vmcnt(0) lgkmcnt(0)
	v_dot4c_i32_i8_e32 v14, v12, v13
	s_nop 2
	flat_store_dword v[8:9], v14 offset:136
	flat_load_dword v12, v[4:5] offset:16
	flat_load_dword v13, v[6:7] offset:12
	s_waitcnt vmcnt(0) lgkmcnt(0)
	v_dot4c_i32_i8_e32 v15, v12, v13
	s_nop 2
	flat_store_dword v[8:9], v15 offset:140
	flat_load_dword v12, v[4:5] offset:20
	flat_load_dword v13, v[6:7]
	s_waitcnt vmcnt(0) lgkmcnt(0)
	v_dot4c_i32_i8_e32 v16, v12, v13
	s_nop 2
	flat_store_dword v[8:9], v16 offset:160
	flat_load_dword v12, v[4:5] offset:20
	flat_load_dword v13, v[6:7] offset:4
	s_waitcnt vmcnt(0) lgkmcnt(0)
	v_dot4c_i32_i8_e32 v17, v12, v13
	s_nop 2
	flat_store_dword v[8:9], v17 offset:164
	flat_load_dword v12, v[4:5] offset:20
	flat_load_dword v13, v[6:7] offset:8
	s_waitcnt vmcnt(0) lgkmcnt(0)
	v_dot4c_i32_i8_e32 v18, v12, v13
	s_nop 2
	flat_store_dword v[8:9], v18 offset:168
	flat_load_dword v12, v[4:5] offset:20
	flat_load_dword v13, v[6:7] offset:12
	s_waitcnt vmcnt(0) lgkmcnt(0)
	v_dot4c_i32_i8_e32 v19, v12, v13
	s_nop 2
	flat_store_dword v[8:9], v19 offset:172
	flat_load_dword v20, v[4:5] offset:24
	flat_load_dword v21, v[6:7]
	flat_load_dwordx4 v[12:15], v[8:9] offset:192
	s_nop 0
	flat_load_dwordx4 v[16:19], v[8:9] offset:224
	s_waitcnt vmcnt(0) lgkmcnt(0)
	v_dot4c_i32_i8_e32 v12, v20, v21
	s_nop 2
	flat_store_dword v[8:9], v12 offset:192
	flat_load_dword v12, v[4:5] offset:24
	s_nop 0
	flat_load_dword v20, v[6:7] offset:4
	s_waitcnt vmcnt(0) lgkmcnt(0)
	v_dot4c_i32_i8_e32 v13, v12, v20
	s_nop 2
	flat_store_dword v[8:9], v13 offset:196
	flat_load_dword v12, v[4:5] offset:24
	s_nop 0
	flat_load_dword v13, v[6:7] offset:8
	s_waitcnt vmcnt(0) lgkmcnt(0)
	v_dot4c_i32_i8_e32 v14, v12, v13
	s_nop 2
	flat_store_dword v[8:9], v14 offset:200
	flat_load_dword v12, v[4:5] offset:24
	flat_load_dword v13, v[6:7] offset:12
	s_waitcnt vmcnt(0) lgkmcnt(0)
	v_dot4c_i32_i8_e32 v15, v12, v13
	s_nop 2
	flat_store_dword v[8:9], v15 offset:204
	flat_load_dword v12, v[4:5] offset:28
	flat_load_dword v13, v[6:7]
	s_waitcnt vmcnt(0) lgkmcnt(0)
	v_dot4c_i32_i8_e32 v16, v12, v13
	s_nop 2
	flat_store_dword v[8:9], v16 offset:224
	flat_load_dword v12, v[4:5] offset:28
	flat_load_dword v13, v[6:7] offset:4
	s_waitcnt vmcnt(0) lgkmcnt(0)
	v_dot4c_i32_i8_e32 v17, v12, v13
	s_nop 2
	flat_store_dword v[8:9], v17 offset:228
	flat_load_dword v12, v[4:5] offset:28
	flat_load_dword v13, v[6:7] offset:8
	;; [unrolled: 6-line block ×3, first 2 shown]
	s_waitcnt vmcnt(0) lgkmcnt(0)
	v_dot4c_i32_i8_e32 v19, v12, v13
	s_nop 2
	flat_store_dword v[8:9], v19 offset:236
	flat_load_dword v12, v[0:1] offset:48
	flat_load_dwordx2 v[14:15], v[10:11]
	s_waitcnt vmcnt(0) lgkmcnt(0)
	v_ashrrev_i32_e32 v13, 31, v12
	v_lshl_add_u64 v[12:13], v[14:15], 0, v[12:13]
	v_add_co_u32_e32 v16, vcc, s0, v12
	s_nop 1
	v_addc_co_u32_e32 v17, vcc, 0, v13, vcc
	flat_load_dwordx4 v[12:15], v[16:17] offset:3072
	flat_load_dword v20, v[6:7] offset:16
	s_waitcnt vmcnt(0) lgkmcnt(0)
	flat_store_dwordx4 v[6:7], v[12:15]
	flat_load_dword v21, v[4:5] offset:16
	s_nop 0
	flat_load_dwordx4 v[12:15], v[8:9] offset:144
	flat_load_dwordx4 v[16:19], v[8:9] offset:176
	s_waitcnt vmcnt(0) lgkmcnt(0)
	v_dot4c_i32_i8_e32 v12, v21, v20
	s_nop 2
	flat_store_dword v[8:9], v12 offset:144
	flat_load_dword v12, v[4:5] offset:16
	s_nop 0
	flat_load_dword v20, v[6:7] offset:20
	s_waitcnt vmcnt(0) lgkmcnt(0)
	v_dot4c_i32_i8_e32 v13, v12, v20
	s_nop 2
	flat_store_dword v[8:9], v13 offset:148
	flat_load_dword v12, v[4:5] offset:16
	s_nop 0
	flat_load_dword v13, v[6:7] offset:24
	s_waitcnt vmcnt(0) lgkmcnt(0)
	v_dot4c_i32_i8_e32 v14, v12, v13
	s_nop 2
	flat_store_dword v[8:9], v14 offset:152
	flat_load_dword v12, v[4:5] offset:16
	flat_load_dword v13, v[6:7] offset:28
	s_waitcnt vmcnt(0) lgkmcnt(0)
	v_dot4c_i32_i8_e32 v15, v12, v13
	s_nop 2
	flat_store_dword v[8:9], v15 offset:156
	flat_load_dword v12, v[4:5] offset:20
	;; [unrolled: 6-line block ×6, first 2 shown]
	flat_load_dword v21, v[6:7] offset:16
	flat_load_dwordx4 v[12:15], v[8:9] offset:208
	s_nop 0
	flat_load_dwordx4 v[16:19], v[8:9] offset:240
	s_waitcnt vmcnt(0) lgkmcnt(0)
	v_dot4c_i32_i8_e32 v12, v20, v21
	s_nop 2
	flat_store_dword v[8:9], v12 offset:208
	flat_load_dword v12, v[4:5] offset:24
	s_nop 0
	flat_load_dword v20, v[6:7] offset:20
	s_waitcnt vmcnt(0) lgkmcnt(0)
	v_dot4c_i32_i8_e32 v13, v12, v20
	s_nop 2
	flat_store_dword v[8:9], v13 offset:212
	flat_load_dword v12, v[4:5] offset:24
	s_nop 0
	flat_load_dword v13, v[6:7] offset:24
	s_waitcnt vmcnt(0) lgkmcnt(0)
	v_dot4c_i32_i8_e32 v14, v12, v13
	s_nop 2
	flat_store_dword v[8:9], v14 offset:216
	flat_load_dword v12, v[4:5] offset:24
	flat_load_dword v13, v[6:7] offset:28
	s_waitcnt vmcnt(0) lgkmcnt(0)
	v_dot4c_i32_i8_e32 v15, v12, v13
	s_nop 2
	flat_store_dword v[8:9], v15 offset:220
	flat_load_dword v12, v[4:5] offset:28
	;; [unrolled: 6-line block ×6, first 2 shown]
	flat_load_dwordx2 v[14:15], v[10:11]
	s_waitcnt vmcnt(0) lgkmcnt(0)
	v_ashrrev_i32_e32 v13, 31, v12
	v_lshl_add_u64 v[12:13], v[14:15], 0, v[12:13]
	v_add_co_u32_e32 v12, vcc, s0, v12
	s_nop 1
	v_addc_co_u32_e32 v13, vcc, 0, v13, vcc
	flat_load_dwordx4 v[12:15], v[12:13] offset:3328
	s_waitcnt vmcnt(0) lgkmcnt(0)
	flat_store_dwordx4 v[6:7], v[12:15] offset:16
	flat_load_dword v12, v[0:1] offset:16
	s_nop 0
	flat_load_dwordx2 v[14:15], v[2:3]
	s_waitcnt vmcnt(0) lgkmcnt(0)
	v_ashrrev_i32_e32 v13, 31, v12
	v_lshl_add_u64 v[12:13], v[14:15], 0, v[12:13]
	v_add_co_u32_e32 v16, vcc, s0, v12
	s_nop 1
	v_addc_co_u32_e32 v17, vcc, 0, v13, vcc
	flat_load_dwordx4 v[12:15], v[16:17] offset:3328
	flat_load_dword v20, v[4:5]
	s_waitcnt vmcnt(0) lgkmcnt(0)
	flat_store_dwordx4 v[4:5], v[12:15] offset:16
	flat_load_dword v21, v[6:7]
	flat_load_dwordx4 v[16:19], v[8:9]
	s_nop 0
	flat_load_dwordx4 v[12:15], v[8:9] offset:16
	s_waitcnt vmcnt(0) lgkmcnt(0)
	v_dot4c_i32_i8_e32 v16, v20, v21
	s_nop 2
	flat_store_dword v[8:9], v16
	flat_load_dword v16, v[4:5]
	s_nop 0
	flat_load_dword v20, v[6:7] offset:4
	s_waitcnt vmcnt(0) lgkmcnt(0)
	v_dot4c_i32_i8_e32 v17, v16, v20
	s_nop 2
	flat_store_dword v[8:9], v17 offset:4
	flat_load_dword v16, v[4:5]
	s_nop 0
	flat_load_dword v17, v[6:7] offset:8
	s_waitcnt vmcnt(0) lgkmcnt(0)
	v_dot4c_i32_i8_e32 v18, v16, v17
	s_nop 2
	flat_store_dword v[8:9], v18 offset:8
	flat_load_dword v16, v[4:5]
	flat_load_dword v17, v[6:7] offset:12
	s_waitcnt vmcnt(0) lgkmcnt(0)
	v_dot4c_i32_i8_e32 v19, v16, v17
	s_nop 2
	flat_store_dword v[8:9], v19 offset:12
	flat_load_dword v24, v[4:5] offset:4
	flat_load_dword v25, v[6:7]
	s_nop 0
	flat_load_dwordx4 v[16:19], v[8:9] offset:32
	flat_load_dwordx4 v[20:23], v[8:9] offset:48
	s_waitcnt vmcnt(0) lgkmcnt(0)
	v_dot4c_i32_i8_e32 v16, v24, v25
	s_nop 2
	flat_store_dword v[8:9], v16 offset:32
	flat_load_dword v16, v[4:5] offset:4
	s_nop 0
	flat_load_dword v24, v[6:7] offset:4
	s_waitcnt vmcnt(0) lgkmcnt(0)
	v_dot4c_i32_i8_e32 v17, v16, v24
	s_nop 2
	flat_store_dword v[8:9], v17 offset:36
	flat_load_dword v16, v[4:5] offset:4
	s_nop 0
	flat_load_dword v17, v[6:7] offset:8
	s_waitcnt vmcnt(0) lgkmcnt(0)
	v_dot4c_i32_i8_e32 v18, v16, v17
	s_nop 2
	flat_store_dword v[8:9], v18 offset:40
	flat_load_dword v16, v[4:5] offset:4
	flat_load_dword v17, v[6:7] offset:12
	s_waitcnt vmcnt(0) lgkmcnt(0)
	v_dot4c_i32_i8_e32 v19, v16, v17
	s_nop 2
	flat_store_dword v[8:9], v19 offset:44
	flat_load_dword v28, v[4:5] offset:8
	flat_load_dword v29, v[6:7]
	s_nop 0
	flat_load_dwordx4 v[16:19], v[8:9] offset:64
	flat_load_dwordx4 v[24:27], v[8:9] offset:80
	s_waitcnt vmcnt(0) lgkmcnt(0)
	v_dot4c_i32_i8_e32 v16, v28, v29
	s_nop 2
	flat_store_dword v[8:9], v16 offset:64
	flat_load_dword v16, v[4:5] offset:8
	s_nop 0
	flat_load_dword v28, v[6:7] offset:4
	s_waitcnt vmcnt(0) lgkmcnt(0)
	v_dot4c_i32_i8_e32 v17, v16, v28
	s_nop 2
	flat_store_dword v[8:9], v17 offset:68
	flat_load_dword v16, v[4:5] offset:8
	s_nop 0
	flat_load_dword v17, v[6:7] offset:8
	s_waitcnt vmcnt(0) lgkmcnt(0)
	v_dot4c_i32_i8_e32 v18, v16, v17
	s_nop 2
	flat_store_dword v[8:9], v18 offset:72
	flat_load_dword v16, v[4:5] offset:8
	;; [unrolled: 29-line block ×3, first 2 shown]
	flat_load_dword v17, v[6:7] offset:12
	s_waitcnt vmcnt(0) lgkmcnt(0)
	v_dot4c_i32_i8_e32 v19, v16, v17
	s_nop 2
	flat_store_dword v[8:9], v19 offset:108
	flat_load_dword v16, v[4:5]
	flat_load_dword v17, v[6:7] offset:16
	s_waitcnt vmcnt(0) lgkmcnt(0)
	v_dot4c_i32_i8_e32 v12, v16, v17
	s_nop 2
	flat_store_dword v[8:9], v12 offset:16
	flat_load_dword v12, v[4:5]
	s_nop 0
	flat_load_dword v16, v[6:7] offset:20
	s_waitcnt vmcnt(0) lgkmcnt(0)
	v_dot4c_i32_i8_e32 v13, v12, v16
	s_nop 2
	flat_store_dword v[8:9], v13 offset:20
	flat_load_dword v12, v[4:5]
	s_nop 0
	flat_load_dword v13, v[6:7] offset:24
	s_waitcnt vmcnt(0) lgkmcnt(0)
	v_dot4c_i32_i8_e32 v14, v12, v13
	s_nop 2
	flat_store_dword v[8:9], v14 offset:24
	flat_load_dword v12, v[4:5]
	flat_load_dword v13, v[6:7] offset:28
	s_waitcnt vmcnt(0) lgkmcnt(0)
	v_dot4c_i32_i8_e32 v15, v12, v13
	s_nop 2
	flat_store_dword v[8:9], v15 offset:28
	flat_load_dword v12, v[4:5] offset:4
	flat_load_dword v13, v[6:7] offset:16
	s_waitcnt vmcnt(0) lgkmcnt(0)
	v_dot4c_i32_i8_e32 v20, v12, v13
	s_nop 2
	flat_store_dword v[8:9], v20 offset:48
	flat_load_dword v12, v[4:5] offset:4
	;; [unrolled: 6-line block ×13, first 2 shown]
	flat_load_dwordx2 v[14:15], v[2:3]
	s_waitcnt vmcnt(0) lgkmcnt(0)
	v_ashrrev_i32_e32 v13, 31, v12
	v_lshl_add_u64 v[12:13], v[14:15], 0, v[12:13]
	v_add_co_u32_e32 v16, vcc, s0, v12
	s_nop 1
	v_addc_co_u32_e32 v17, vcc, 0, v13, vcc
	flat_load_dwordx4 v[12:15], v[16:17] offset:3584
	flat_load_dword v20, v[4:5] offset:16
	s_waitcnt vmcnt(0) lgkmcnt(0)
	flat_store_dwordx4 v[4:5], v[12:15]
	flat_load_dword v21, v[6:7]
	s_nop 0
	flat_load_dwordx4 v[12:15], v[8:9] offset:128
	flat_load_dwordx4 v[16:19], v[8:9] offset:160
	s_waitcnt vmcnt(0) lgkmcnt(0)
	v_dot4c_i32_i8_e32 v12, v20, v21
	s_nop 2
	flat_store_dword v[8:9], v12 offset:128
	flat_load_dword v12, v[4:5] offset:16
	s_nop 0
	flat_load_dword v20, v[6:7] offset:4
	s_waitcnt vmcnt(0) lgkmcnt(0)
	v_dot4c_i32_i8_e32 v13, v12, v20
	s_nop 2
	flat_store_dword v[8:9], v13 offset:132
	flat_load_dword v12, v[4:5] offset:16
	s_nop 0
	flat_load_dword v13, v[6:7] offset:8
	s_waitcnt vmcnt(0) lgkmcnt(0)
	v_dot4c_i32_i8_e32 v14, v12, v13
	s_nop 2
	flat_store_dword v[8:9], v14 offset:136
	flat_load_dword v12, v[4:5] offset:16
	flat_load_dword v13, v[6:7] offset:12
	s_waitcnt vmcnt(0) lgkmcnt(0)
	v_dot4c_i32_i8_e32 v15, v12, v13
	s_nop 2
	flat_store_dword v[8:9], v15 offset:140
	flat_load_dword v12, v[4:5] offset:20
	flat_load_dword v13, v[6:7]
	s_waitcnt vmcnt(0) lgkmcnt(0)
	v_dot4c_i32_i8_e32 v16, v12, v13
	s_nop 2
	flat_store_dword v[8:9], v16 offset:160
	flat_load_dword v12, v[4:5] offset:20
	flat_load_dword v13, v[6:7] offset:4
	s_waitcnt vmcnt(0) lgkmcnt(0)
	v_dot4c_i32_i8_e32 v17, v12, v13
	s_nop 2
	flat_store_dword v[8:9], v17 offset:164
	flat_load_dword v12, v[4:5] offset:20
	flat_load_dword v13, v[6:7] offset:8
	;; [unrolled: 6-line block ×3, first 2 shown]
	s_waitcnt vmcnt(0) lgkmcnt(0)
	v_dot4c_i32_i8_e32 v19, v12, v13
	s_nop 2
	flat_store_dword v[8:9], v19 offset:172
	flat_load_dword v20, v[4:5] offset:24
	flat_load_dword v21, v[6:7]
	flat_load_dwordx4 v[12:15], v[8:9] offset:192
	s_nop 0
	flat_load_dwordx4 v[16:19], v[8:9] offset:224
	s_waitcnt vmcnt(0) lgkmcnt(0)
	v_dot4c_i32_i8_e32 v12, v20, v21
	s_nop 2
	flat_store_dword v[8:9], v12 offset:192
	flat_load_dword v12, v[4:5] offset:24
	s_nop 0
	flat_load_dword v20, v[6:7] offset:4
	s_waitcnt vmcnt(0) lgkmcnt(0)
	v_dot4c_i32_i8_e32 v13, v12, v20
	s_nop 2
	flat_store_dword v[8:9], v13 offset:196
	flat_load_dword v12, v[4:5] offset:24
	s_nop 0
	flat_load_dword v13, v[6:7] offset:8
	s_waitcnt vmcnt(0) lgkmcnt(0)
	v_dot4c_i32_i8_e32 v14, v12, v13
	s_nop 2
	flat_store_dword v[8:9], v14 offset:200
	flat_load_dword v12, v[4:5] offset:24
	flat_load_dword v13, v[6:7] offset:12
	s_waitcnt vmcnt(0) lgkmcnt(0)
	v_dot4c_i32_i8_e32 v15, v12, v13
	s_nop 2
	flat_store_dword v[8:9], v15 offset:204
	flat_load_dword v12, v[4:5] offset:28
	flat_load_dword v13, v[6:7]
	s_waitcnt vmcnt(0) lgkmcnt(0)
	v_dot4c_i32_i8_e32 v16, v12, v13
	s_nop 2
	flat_store_dword v[8:9], v16 offset:224
	flat_load_dword v12, v[4:5] offset:28
	flat_load_dword v13, v[6:7] offset:4
	s_waitcnt vmcnt(0) lgkmcnt(0)
	v_dot4c_i32_i8_e32 v17, v12, v13
	s_nop 2
	flat_store_dword v[8:9], v17 offset:228
	flat_load_dword v12, v[4:5] offset:28
	flat_load_dword v13, v[6:7] offset:8
	;; [unrolled: 6-line block ×3, first 2 shown]
	s_waitcnt vmcnt(0) lgkmcnt(0)
	v_dot4c_i32_i8_e32 v19, v12, v13
	s_nop 2
	flat_store_dword v[8:9], v19 offset:236
	flat_load_dword v12, v[0:1] offset:48
	flat_load_dwordx2 v[14:15], v[10:11]
	s_waitcnt vmcnt(0) lgkmcnt(0)
	v_ashrrev_i32_e32 v13, 31, v12
	v_lshl_add_u64 v[12:13], v[14:15], 0, v[12:13]
	v_add_co_u32_e32 v16, vcc, s0, v12
	s_nop 1
	v_addc_co_u32_e32 v17, vcc, 0, v13, vcc
	flat_load_dwordx4 v[12:15], v[16:17] offset:3584
	flat_load_dword v20, v[6:7] offset:16
	s_waitcnt vmcnt(0) lgkmcnt(0)
	flat_store_dwordx4 v[6:7], v[12:15]
	flat_load_dword v21, v[4:5] offset:16
	s_nop 0
	flat_load_dwordx4 v[12:15], v[8:9] offset:144
	flat_load_dwordx4 v[16:19], v[8:9] offset:176
	s_waitcnt vmcnt(0) lgkmcnt(0)
	v_dot4c_i32_i8_e32 v12, v21, v20
	s_nop 2
	flat_store_dword v[8:9], v12 offset:144
	flat_load_dword v12, v[4:5] offset:16
	s_nop 0
	flat_load_dword v20, v[6:7] offset:20
	s_waitcnt vmcnt(0) lgkmcnt(0)
	v_dot4c_i32_i8_e32 v13, v12, v20
	s_nop 2
	flat_store_dword v[8:9], v13 offset:148
	flat_load_dword v12, v[4:5] offset:16
	s_nop 0
	flat_load_dword v13, v[6:7] offset:24
	s_waitcnt vmcnt(0) lgkmcnt(0)
	v_dot4c_i32_i8_e32 v14, v12, v13
	s_nop 2
	flat_store_dword v[8:9], v14 offset:152
	flat_load_dword v12, v[4:5] offset:16
	flat_load_dword v13, v[6:7] offset:28
	s_waitcnt vmcnt(0) lgkmcnt(0)
	v_dot4c_i32_i8_e32 v15, v12, v13
	s_nop 2
	flat_store_dword v[8:9], v15 offset:156
	flat_load_dword v12, v[4:5] offset:20
	;; [unrolled: 6-line block ×6, first 2 shown]
	flat_load_dword v21, v[6:7] offset:16
	flat_load_dwordx4 v[12:15], v[8:9] offset:208
	s_nop 0
	flat_load_dwordx4 v[16:19], v[8:9] offset:240
	s_waitcnt vmcnt(0) lgkmcnt(0)
	v_dot4c_i32_i8_e32 v12, v20, v21
	s_nop 2
	flat_store_dword v[8:9], v12 offset:208
	flat_load_dword v12, v[4:5] offset:24
	s_nop 0
	flat_load_dword v20, v[6:7] offset:20
	s_waitcnt vmcnt(0) lgkmcnt(0)
	v_dot4c_i32_i8_e32 v13, v12, v20
	s_nop 2
	flat_store_dword v[8:9], v13 offset:212
	flat_load_dword v12, v[4:5] offset:24
	s_nop 0
	flat_load_dword v13, v[6:7] offset:24
	s_waitcnt vmcnt(0) lgkmcnt(0)
	v_dot4c_i32_i8_e32 v14, v12, v13
	s_nop 2
	flat_store_dword v[8:9], v14 offset:216
	flat_load_dword v12, v[4:5] offset:24
	flat_load_dword v13, v[6:7] offset:28
	s_waitcnt vmcnt(0) lgkmcnt(0)
	v_dot4c_i32_i8_e32 v15, v12, v13
	s_nop 2
	flat_store_dword v[8:9], v15 offset:220
	flat_load_dword v12, v[4:5] offset:28
	;; [unrolled: 6-line block ×6, first 2 shown]
	flat_load_dwordx2 v[14:15], v[10:11]
	s_waitcnt vmcnt(0) lgkmcnt(0)
	v_ashrrev_i32_e32 v13, 31, v12
	v_lshl_add_u64 v[10:11], v[14:15], 0, v[12:13]
	v_add_co_u32_e32 v10, vcc, s0, v10
	s_nop 1
	v_addc_co_u32_e32 v11, vcc, 0, v11, vcc
	flat_load_dwordx4 v[10:13], v[10:11] offset:3840
	s_waitcnt vmcnt(0) lgkmcnt(0)
	flat_store_dwordx4 v[6:7], v[10:13] offset:16
	flat_load_dword v10, v[0:1] offset:16
	s_nop 0
	flat_load_dwordx2 v[12:13], v[2:3]
	s_waitcnt vmcnt(0) lgkmcnt(0)
	v_ashrrev_i32_e32 v11, 31, v10
	v_lshl_add_u64 v[0:1], v[12:13], 0, v[10:11]
	v_add_co_u32_e32 v10, vcc, s0, v0
	s_nop 1
	v_addc_co_u32_e32 v11, vcc, 0, v1, vcc
	flat_load_dwordx4 v[0:3], v[10:11] offset:3840
	flat_load_dword v14, v[4:5]
	s_waitcnt vmcnt(0) lgkmcnt(0)
	flat_store_dwordx4 v[4:5], v[0:3] offset:16
	flat_load_dword v15, v[6:7]
	flat_load_dwordx4 v[10:13], v[8:9]
	s_nop 0
	flat_load_dwordx4 v[0:3], v[8:9] offset:16
	s_waitcnt vmcnt(0) lgkmcnt(0)
	v_dot4c_i32_i8_e32 v10, v14, v15
	s_nop 2
	flat_store_dword v[8:9], v10
	flat_load_dword v10, v[4:5]
	s_nop 0
	flat_load_dword v14, v[6:7] offset:4
	s_waitcnt vmcnt(0) lgkmcnt(0)
	v_dot4c_i32_i8_e32 v11, v10, v14
	s_nop 2
	flat_store_dword v[8:9], v11 offset:4
	flat_load_dword v10, v[4:5]
	s_nop 0
	flat_load_dword v11, v[6:7] offset:8
	s_waitcnt vmcnt(0) lgkmcnt(0)
	v_dot4c_i32_i8_e32 v12, v10, v11
	s_nop 2
	flat_store_dword v[8:9], v12 offset:8
	flat_load_dword v10, v[4:5]
	flat_load_dword v11, v[6:7] offset:12
	s_waitcnt vmcnt(0) lgkmcnt(0)
	v_dot4c_i32_i8_e32 v13, v10, v11
	s_nop 2
	flat_store_dword v[8:9], v13 offset:12
	flat_load_dword v18, v[4:5] offset:4
	flat_load_dword v19, v[6:7]
	s_nop 0
	flat_load_dwordx4 v[10:13], v[8:9] offset:32
	flat_load_dwordx4 v[14:17], v[8:9] offset:48
	s_waitcnt vmcnt(0) lgkmcnt(0)
	v_dot4c_i32_i8_e32 v10, v18, v19
	s_nop 2
	flat_store_dword v[8:9], v10 offset:32
	flat_load_dword v10, v[4:5] offset:4
	s_nop 0
	flat_load_dword v18, v[6:7] offset:4
	s_waitcnt vmcnt(0) lgkmcnt(0)
	v_dot4c_i32_i8_e32 v11, v10, v18
	s_nop 2
	flat_store_dword v[8:9], v11 offset:36
	flat_load_dword v10, v[4:5] offset:4
	s_nop 0
	flat_load_dword v11, v[6:7] offset:8
	s_waitcnt vmcnt(0) lgkmcnt(0)
	v_dot4c_i32_i8_e32 v12, v10, v11
	s_nop 2
	flat_store_dword v[8:9], v12 offset:40
	flat_load_dword v10, v[4:5] offset:4
	flat_load_dword v11, v[6:7] offset:12
	s_waitcnt vmcnt(0) lgkmcnt(0)
	v_dot4c_i32_i8_e32 v13, v10, v11
	s_nop 2
	flat_store_dword v[8:9], v13 offset:44
	flat_load_dword v22, v[4:5] offset:8
	flat_load_dword v23, v[6:7]
	s_nop 0
	flat_load_dwordx4 v[10:13], v[8:9] offset:64
	flat_load_dwordx4 v[18:21], v[8:9] offset:80
	s_waitcnt vmcnt(0) lgkmcnt(0)
	v_dot4c_i32_i8_e32 v10, v22, v23
	s_nop 2
	flat_store_dword v[8:9], v10 offset:64
	flat_load_dword v10, v[4:5] offset:8
	s_nop 0
	flat_load_dword v22, v[6:7] offset:4
	s_waitcnt vmcnt(0) lgkmcnt(0)
	v_dot4c_i32_i8_e32 v11, v10, v22
	s_nop 2
	flat_store_dword v[8:9], v11 offset:68
	flat_load_dword v10, v[4:5] offset:8
	s_nop 0
	flat_load_dword v11, v[6:7] offset:8
	s_waitcnt vmcnt(0) lgkmcnt(0)
	v_dot4c_i32_i8_e32 v12, v10, v11
	s_nop 2
	flat_store_dword v[8:9], v12 offset:72
	flat_load_dword v10, v[4:5] offset:8
	;; [unrolled: 29-line block ×3, first 2 shown]
	flat_load_dword v11, v[6:7] offset:12
	s_waitcnt vmcnt(0) lgkmcnt(0)
	v_dot4c_i32_i8_e32 v13, v10, v11
	s_nop 2
	flat_store_dword v[8:9], v13 offset:108
	flat_load_dword v10, v[4:5]
	flat_load_dword v11, v[6:7] offset:16
	s_waitcnt vmcnt(0) lgkmcnt(0)
	v_dot4c_i32_i8_e32 v0, v10, v11
	s_nop 2
	flat_store_dword v[8:9], v0 offset:16
	flat_load_dword v0, v[4:5]
	s_nop 0
	flat_load_dword v10, v[6:7] offset:20
	s_waitcnt vmcnt(0) lgkmcnt(0)
	v_dot4c_i32_i8_e32 v1, v0, v10
	s_nop 2
	flat_store_dword v[8:9], v1 offset:20
	flat_load_dword v0, v[4:5]
	s_nop 0
	flat_load_dword v1, v[6:7] offset:24
	s_waitcnt vmcnt(0) lgkmcnt(0)
	v_dot4c_i32_i8_e32 v2, v0, v1
	s_nop 2
	flat_store_dword v[8:9], v2 offset:24
	flat_load_dword v0, v[4:5]
	flat_load_dword v1, v[6:7] offset:28
	s_waitcnt vmcnt(0) lgkmcnt(0)
	v_dot4c_i32_i8_e32 v3, v0, v1
	s_nop 2
	flat_store_dword v[8:9], v3 offset:28
	flat_load_dword v0, v[4:5] offset:4
	flat_load_dword v1, v[6:7] offset:16
	s_waitcnt vmcnt(0) lgkmcnt(0)
	v_dot4c_i32_i8_e32 v14, v0, v1
	s_nop 2
	flat_store_dword v[8:9], v14 offset:48
	flat_load_dword v0, v[4:5] offset:4
	;; [unrolled: 6-line block ×12, first 2 shown]
	flat_load_dword v1, v[6:7] offset:28
	s_waitcnt vmcnt(0) lgkmcnt(0)
	v_dot4c_i32_i8_e32 v25, v0, v1
	s_nop 2
	flat_store_dword v[8:9], v25 offset:124
	s_waitcnt vmcnt(0) lgkmcnt(0)
	s_setpc_b64 s[30:31]
.Lfunc_end1:
	.size	_ZNK2ck6detail15static_for_implINS_8SequenceIJLi1ELi2ELi3ELi4ELi5ELi6ELi7ELi8ELi9ELi10ELi11ELi12ELi13ELi14ELi15EEEEEclIZNKS_80BlockwiseGemmDl_A_BK0_BM_BK1_B_BK0_BN_BK1_C_BM0_BM1_BN0_BN1_pipeline_BM0_2_BN0_2ILi256EaaiKNS_16TensorDescriptorINS_5TupleIJNS_5EmbedINS8_IJNS_17integral_constantIiLi16EEENSA_IiLi128EEENSA_IiLi4EEEEEENS8_IJNSA_IiLi512EEESD_NSA_IiLi1EEEEEELb0EEEEEENS8_IJNS2_IJLi0EEEEEEENS8_IJNS2_IJLi1ELi2ELi3EEEEEEESM_NSA_IlLl8192EEEEESQ_Li4ELi4ELi1ENS2_IJLi8ELi2EEEESR_Li4ELi4ELb0EE3RunINS7_INS8_IJNS_7UnMergeINS8_IJNSA_IiLi2EEESD_SV_SD_EEELb0EEEEEESL_NS8_IJNS2_IJLi1ELi2ELi3ELi4EEEEEEESZ_NSA_IlLl64EEEEENS_13DynamicBufferILNS_16AddressSpaceEnumE2EaSO_Lb1ELNS_22AmdBufferCoherenceEnumE0EiEES16_NS_12StaticBufferILS14_4EiLi64ELb1EEEEEvRKT_RKT0_RKT1_RT2_EUlS19_E_EEvS19_, .Lfunc_end1-_ZNK2ck6detail15static_for_implINS_8SequenceIJLi1ELi2ELi3ELi4ELi5ELi6ELi7ELi8ELi9ELi10ELi11ELi12ELi13ELi14ELi15EEEEEclIZNKS_80BlockwiseGemmDl_A_BK0_BM_BK1_B_BK0_BN_BK1_C_BM0_BM1_BN0_BN1_pipeline_BM0_2_BN0_2ILi256EaaiKNS_16TensorDescriptorINS_5TupleIJNS_5EmbedINS8_IJNS_17integral_constantIiLi16EEENSA_IiLi128EEENSA_IiLi4EEEEEENS8_IJNSA_IiLi512EEESD_NSA_IiLi1EEEEEELb0EEEEEENS8_IJNS2_IJLi0EEEEEEENS8_IJNS2_IJLi1ELi2ELi3EEEEEEESM_NSA_IlLl8192EEEEESQ_Li4ELi4ELi1ENS2_IJLi8ELi2EEEESR_Li4ELi4ELb0EE3RunINS7_INS8_IJNS_7UnMergeINS8_IJNSA_IiLi2EEESD_SV_SD_EEELb0EEEEEESL_NS8_IJNS2_IJLi1ELi2ELi3ELi4EEEEEEESZ_NSA_IlLl64EEEEENS_13DynamicBufferILNS_16AddressSpaceEnumE2EaSO_Lb1ELNS_22AmdBufferCoherenceEnumE0EiEES16_NS_12StaticBufferILS14_4EiLi64ELb1EEEEEvRKT_RKT0_RKT1_RT2_EUlS19_E_EEvS19_
                                        ; -- End function
	.section	.AMDGPU.csdata,"",@progbits
; Function info:
; codeLenInByte = 41600
; NumSgprs: 38
; NumVgprs: 34
; NumAgprs: 0
; TotalNumVgprs: 34
; ScratchSize: 0
; MemoryBound: 0
	.section	.text._ZN2ck19kernel_gemm_dl_v1r3INS_28GridwiseGemmDl_km_kn_mn_v1r3ILi256EaiaLNS_25InMemoryDataOperationEnumE0ENS_16TensorDescriptorINS_5TupleIJNS_5EmbedINS4_IJiiEEENS4_IJNS_17integral_constantIiLi1EEEiEEELb0EEENS_7UnMergeINS4_IJiNS7_IiLi4EEEEEELb0EEENS_11PassThroughIiEEEEENS4_IJNS_8SequenceIJLi0EEEENSI_IJLi2EEEENSI_IJLi1EEEEEEENS4_IJNSI_IJLi1ELi2EEEENSI_IJLi3ELi4EEEENSI_IJLi5EEEEEEENSI_IJLi3ELi5ELi4EEEElEENS3_INS4_IJNS5_IS6_NS4_IJiS8_EEELb0EEESE_SG_EEENS4_IJSJ_SL_SK_EEESQ_SR_lEENS3_INS4_IJSU_SG_SG_EEESW_NS4_IJSN_NSI_IJLi3EEEENSI_IJLi4EEEEEEESO_lEELi128ELi128ELi16ELi4ELi4ELi4ELi1ENSI_IJLi8ELi2EEEES13_NSI_IJLi2ELi1ELi4ELi4EEEENSI_IJLi8ELi1ELi32ELi1EEEENSI_IJLi0ELi3ELi1ELi2EEEES16_NSI_IJLi1ELi1ELi4ELi1EEEES16_NSI_IJLi1ELi1ELi4ELi4EEEES14_S15_S16_S16_S17_S16_S18_NSI_IJLi0ELi1ELi2ELi3ELi4ELi5EEEELi5ELi4EEEaaNS3_INS4_IJSA_SE_SG_SG_NSB_INS4_IJiNS7_IiLi128EEEEEELb0EEENSF_ISC_EEEEENS4_IJSJ_SK_SL_SZ_SP_S10_EEENS4_IJSN_SO_SP_NSI_IJLi6EEEENSI_IJLi7ELi8EEEENSI_IJLi9EEEEEEENSI_IJLi6ELi7ELi8ELi9EEEElEENS3_INS4_IJSU_SE_SG_SG_S1D_S1E_EEENS4_IJSJ_SL_SK_SZ_SP_S10_EEES1K_S1L_lEENS3_INS4_IJSU_SG_SG_NSB_INS4_IJiNS7_IiLi2EEENS7_IiLi64EEEEEELb0EEES1T_EEENS4_IJSJ_SL_SK_SZ_S10_EEENS4_IJSN_SZ_S10_NSI_IJLi5ELi6ELi7EEEENSI_IJLi8ELi9ELi10EEEEEEENSI_IJLi5ELi6ELi7ELi8ELi9ELi10EEEElEENS_31BlockToCTileMap_M00_N00_M01_N01ILi128ELi128ES12_Lb0EEELb1ELb1EEEvPKT0_S25_PT1_T2_T3_T4_T5_,"axG",@progbits,_ZN2ck19kernel_gemm_dl_v1r3INS_28GridwiseGemmDl_km_kn_mn_v1r3ILi256EaiaLNS_25InMemoryDataOperationEnumE0ENS_16TensorDescriptorINS_5TupleIJNS_5EmbedINS4_IJiiEEENS4_IJNS_17integral_constantIiLi1EEEiEEELb0EEENS_7UnMergeINS4_IJiNS7_IiLi4EEEEEELb0EEENS_11PassThroughIiEEEEENS4_IJNS_8SequenceIJLi0EEEENSI_IJLi2EEEENSI_IJLi1EEEEEEENS4_IJNSI_IJLi1ELi2EEEENSI_IJLi3ELi4EEEENSI_IJLi5EEEEEEENSI_IJLi3ELi5ELi4EEEElEENS3_INS4_IJNS5_IS6_NS4_IJiS8_EEELb0EEESE_SG_EEENS4_IJSJ_SL_SK_EEESQ_SR_lEENS3_INS4_IJSU_SG_SG_EEESW_NS4_IJSN_NSI_IJLi3EEEENSI_IJLi4EEEEEEESO_lEELi128ELi128ELi16ELi4ELi4ELi4ELi1ENSI_IJLi8ELi2EEEES13_NSI_IJLi2ELi1ELi4ELi4EEEENSI_IJLi8ELi1ELi32ELi1EEEENSI_IJLi0ELi3ELi1ELi2EEEES16_NSI_IJLi1ELi1ELi4ELi1EEEES16_NSI_IJLi1ELi1ELi4ELi4EEEES14_S15_S16_S16_S17_S16_S18_NSI_IJLi0ELi1ELi2ELi3ELi4ELi5EEEELi5ELi4EEEaaNS3_INS4_IJSA_SE_SG_SG_NSB_INS4_IJiNS7_IiLi128EEEEEELb0EEENSF_ISC_EEEEENS4_IJSJ_SK_SL_SZ_SP_S10_EEENS4_IJSN_SO_SP_NSI_IJLi6EEEENSI_IJLi7ELi8EEEENSI_IJLi9EEEEEEENSI_IJLi6ELi7ELi8ELi9EEEElEENS3_INS4_IJSU_SE_SG_SG_S1D_S1E_EEENS4_IJSJ_SL_SK_SZ_SP_S10_EEES1K_S1L_lEENS3_INS4_IJSU_SG_SG_NSB_INS4_IJiNS7_IiLi2EEENS7_IiLi64EEEEEELb0EEES1T_EEENS4_IJSJ_SL_SK_SZ_S10_EEENS4_IJSN_SZ_S10_NSI_IJLi5ELi6ELi7EEEENSI_IJLi8ELi9ELi10EEEEEEENSI_IJLi5ELi6ELi7ELi8ELi9ELi10EEEElEENS_31BlockToCTileMap_M00_N00_M01_N01ILi128ELi128ES12_Lb0EEELb1ELb1EEEvPKT0_S25_PT1_T2_T3_T4_T5_,comdat
	.protected	_ZN2ck19kernel_gemm_dl_v1r3INS_28GridwiseGemmDl_km_kn_mn_v1r3ILi256EaiaLNS_25InMemoryDataOperationEnumE0ENS_16TensorDescriptorINS_5TupleIJNS_5EmbedINS4_IJiiEEENS4_IJNS_17integral_constantIiLi1EEEiEEELb0EEENS_7UnMergeINS4_IJiNS7_IiLi4EEEEEELb0EEENS_11PassThroughIiEEEEENS4_IJNS_8SequenceIJLi0EEEENSI_IJLi2EEEENSI_IJLi1EEEEEEENS4_IJNSI_IJLi1ELi2EEEENSI_IJLi3ELi4EEEENSI_IJLi5EEEEEEENSI_IJLi3ELi5ELi4EEEElEENS3_INS4_IJNS5_IS6_NS4_IJiS8_EEELb0EEESE_SG_EEENS4_IJSJ_SL_SK_EEESQ_SR_lEENS3_INS4_IJSU_SG_SG_EEESW_NS4_IJSN_NSI_IJLi3EEEENSI_IJLi4EEEEEEESO_lEELi128ELi128ELi16ELi4ELi4ELi4ELi1ENSI_IJLi8ELi2EEEES13_NSI_IJLi2ELi1ELi4ELi4EEEENSI_IJLi8ELi1ELi32ELi1EEEENSI_IJLi0ELi3ELi1ELi2EEEES16_NSI_IJLi1ELi1ELi4ELi1EEEES16_NSI_IJLi1ELi1ELi4ELi4EEEES14_S15_S16_S16_S17_S16_S18_NSI_IJLi0ELi1ELi2ELi3ELi4ELi5EEEELi5ELi4EEEaaNS3_INS4_IJSA_SE_SG_SG_NSB_INS4_IJiNS7_IiLi128EEEEEELb0EEENSF_ISC_EEEEENS4_IJSJ_SK_SL_SZ_SP_S10_EEENS4_IJSN_SO_SP_NSI_IJLi6EEEENSI_IJLi7ELi8EEEENSI_IJLi9EEEEEEENSI_IJLi6ELi7ELi8ELi9EEEElEENS3_INS4_IJSU_SE_SG_SG_S1D_S1E_EEENS4_IJSJ_SL_SK_SZ_SP_S10_EEES1K_S1L_lEENS3_INS4_IJSU_SG_SG_NSB_INS4_IJiNS7_IiLi2EEENS7_IiLi64EEEEEELb0EEES1T_EEENS4_IJSJ_SL_SK_SZ_S10_EEENS4_IJSN_SZ_S10_NSI_IJLi5ELi6ELi7EEEENSI_IJLi8ELi9ELi10EEEEEEENSI_IJLi5ELi6ELi7ELi8ELi9ELi10EEEElEENS_31BlockToCTileMap_M00_N00_M01_N01ILi128ELi128ES12_Lb0EEELb1ELb1EEEvPKT0_S25_PT1_T2_T3_T4_T5_ ; -- Begin function _ZN2ck19kernel_gemm_dl_v1r3INS_28GridwiseGemmDl_km_kn_mn_v1r3ILi256EaiaLNS_25InMemoryDataOperationEnumE0ENS_16TensorDescriptorINS_5TupleIJNS_5EmbedINS4_IJiiEEENS4_IJNS_17integral_constantIiLi1EEEiEEELb0EEENS_7UnMergeINS4_IJiNS7_IiLi4EEEEEELb0EEENS_11PassThroughIiEEEEENS4_IJNS_8SequenceIJLi0EEEENSI_IJLi2EEEENSI_IJLi1EEEEEEENS4_IJNSI_IJLi1ELi2EEEENSI_IJLi3ELi4EEEENSI_IJLi5EEEEEEENSI_IJLi3ELi5ELi4EEEElEENS3_INS4_IJNS5_IS6_NS4_IJiS8_EEELb0EEESE_SG_EEENS4_IJSJ_SL_SK_EEESQ_SR_lEENS3_INS4_IJSU_SG_SG_EEESW_NS4_IJSN_NSI_IJLi3EEEENSI_IJLi4EEEEEEESO_lEELi128ELi128ELi16ELi4ELi4ELi4ELi1ENSI_IJLi8ELi2EEEES13_NSI_IJLi2ELi1ELi4ELi4EEEENSI_IJLi8ELi1ELi32ELi1EEEENSI_IJLi0ELi3ELi1ELi2EEEES16_NSI_IJLi1ELi1ELi4ELi1EEEES16_NSI_IJLi1ELi1ELi4ELi4EEEES14_S15_S16_S16_S17_S16_S18_NSI_IJLi0ELi1ELi2ELi3ELi4ELi5EEEELi5ELi4EEEaaNS3_INS4_IJSA_SE_SG_SG_NSB_INS4_IJiNS7_IiLi128EEEEEELb0EEENSF_ISC_EEEEENS4_IJSJ_SK_SL_SZ_SP_S10_EEENS4_IJSN_SO_SP_NSI_IJLi6EEEENSI_IJLi7ELi8EEEENSI_IJLi9EEEEEEENSI_IJLi6ELi7ELi8ELi9EEEElEENS3_INS4_IJSU_SE_SG_SG_S1D_S1E_EEENS4_IJSJ_SL_SK_SZ_SP_S10_EEES1K_S1L_lEENS3_INS4_IJSU_SG_SG_NSB_INS4_IJiNS7_IiLi2EEENS7_IiLi64EEEEEELb0EEES1T_EEENS4_IJSJ_SL_SK_SZ_S10_EEENS4_IJSN_SZ_S10_NSI_IJLi5ELi6ELi7EEEENSI_IJLi8ELi9ELi10EEEEEEENSI_IJLi5ELi6ELi7ELi8ELi9ELi10EEEElEENS_31BlockToCTileMap_M00_N00_M01_N01ILi128ELi128ES12_Lb0EEELb1ELb1EEEvPKT0_S25_PT1_T2_T3_T4_T5_
	.globl	_ZN2ck19kernel_gemm_dl_v1r3INS_28GridwiseGemmDl_km_kn_mn_v1r3ILi256EaiaLNS_25InMemoryDataOperationEnumE0ENS_16TensorDescriptorINS_5TupleIJNS_5EmbedINS4_IJiiEEENS4_IJNS_17integral_constantIiLi1EEEiEEELb0EEENS_7UnMergeINS4_IJiNS7_IiLi4EEEEEELb0EEENS_11PassThroughIiEEEEENS4_IJNS_8SequenceIJLi0EEEENSI_IJLi2EEEENSI_IJLi1EEEEEEENS4_IJNSI_IJLi1ELi2EEEENSI_IJLi3ELi4EEEENSI_IJLi5EEEEEEENSI_IJLi3ELi5ELi4EEEElEENS3_INS4_IJNS5_IS6_NS4_IJiS8_EEELb0EEESE_SG_EEENS4_IJSJ_SL_SK_EEESQ_SR_lEENS3_INS4_IJSU_SG_SG_EEESW_NS4_IJSN_NSI_IJLi3EEEENSI_IJLi4EEEEEEESO_lEELi128ELi128ELi16ELi4ELi4ELi4ELi1ENSI_IJLi8ELi2EEEES13_NSI_IJLi2ELi1ELi4ELi4EEEENSI_IJLi8ELi1ELi32ELi1EEEENSI_IJLi0ELi3ELi1ELi2EEEES16_NSI_IJLi1ELi1ELi4ELi1EEEES16_NSI_IJLi1ELi1ELi4ELi4EEEES14_S15_S16_S16_S17_S16_S18_NSI_IJLi0ELi1ELi2ELi3ELi4ELi5EEEELi5ELi4EEEaaNS3_INS4_IJSA_SE_SG_SG_NSB_INS4_IJiNS7_IiLi128EEEEEELb0EEENSF_ISC_EEEEENS4_IJSJ_SK_SL_SZ_SP_S10_EEENS4_IJSN_SO_SP_NSI_IJLi6EEEENSI_IJLi7ELi8EEEENSI_IJLi9EEEEEEENSI_IJLi6ELi7ELi8ELi9EEEElEENS3_INS4_IJSU_SE_SG_SG_S1D_S1E_EEENS4_IJSJ_SL_SK_SZ_SP_S10_EEES1K_S1L_lEENS3_INS4_IJSU_SG_SG_NSB_INS4_IJiNS7_IiLi2EEENS7_IiLi64EEEEEELb0EEES1T_EEENS4_IJSJ_SL_SK_SZ_S10_EEENS4_IJSN_SZ_S10_NSI_IJLi5ELi6ELi7EEEENSI_IJLi8ELi9ELi10EEEEEEENSI_IJLi5ELi6ELi7ELi8ELi9ELi10EEEElEENS_31BlockToCTileMap_M00_N00_M01_N01ILi128ELi128ES12_Lb0EEELb1ELb1EEEvPKT0_S25_PT1_T2_T3_T4_T5_
	.p2align	8
	.type	_ZN2ck19kernel_gemm_dl_v1r3INS_28GridwiseGemmDl_km_kn_mn_v1r3ILi256EaiaLNS_25InMemoryDataOperationEnumE0ENS_16TensorDescriptorINS_5TupleIJNS_5EmbedINS4_IJiiEEENS4_IJNS_17integral_constantIiLi1EEEiEEELb0EEENS_7UnMergeINS4_IJiNS7_IiLi4EEEEEELb0EEENS_11PassThroughIiEEEEENS4_IJNS_8SequenceIJLi0EEEENSI_IJLi2EEEENSI_IJLi1EEEEEEENS4_IJNSI_IJLi1ELi2EEEENSI_IJLi3ELi4EEEENSI_IJLi5EEEEEEENSI_IJLi3ELi5ELi4EEEElEENS3_INS4_IJNS5_IS6_NS4_IJiS8_EEELb0EEESE_SG_EEENS4_IJSJ_SL_SK_EEESQ_SR_lEENS3_INS4_IJSU_SG_SG_EEESW_NS4_IJSN_NSI_IJLi3EEEENSI_IJLi4EEEEEEESO_lEELi128ELi128ELi16ELi4ELi4ELi4ELi1ENSI_IJLi8ELi2EEEES13_NSI_IJLi2ELi1ELi4ELi4EEEENSI_IJLi8ELi1ELi32ELi1EEEENSI_IJLi0ELi3ELi1ELi2EEEES16_NSI_IJLi1ELi1ELi4ELi1EEEES16_NSI_IJLi1ELi1ELi4ELi4EEEES14_S15_S16_S16_S17_S16_S18_NSI_IJLi0ELi1ELi2ELi3ELi4ELi5EEEELi5ELi4EEEaaNS3_INS4_IJSA_SE_SG_SG_NSB_INS4_IJiNS7_IiLi128EEEEEELb0EEENSF_ISC_EEEEENS4_IJSJ_SK_SL_SZ_SP_S10_EEENS4_IJSN_SO_SP_NSI_IJLi6EEEENSI_IJLi7ELi8EEEENSI_IJLi9EEEEEEENSI_IJLi6ELi7ELi8ELi9EEEElEENS3_INS4_IJSU_SE_SG_SG_S1D_S1E_EEENS4_IJSJ_SL_SK_SZ_SP_S10_EEES1K_S1L_lEENS3_INS4_IJSU_SG_SG_NSB_INS4_IJiNS7_IiLi2EEENS7_IiLi64EEEEEELb0EEES1T_EEENS4_IJSJ_SL_SK_SZ_S10_EEENS4_IJSN_SZ_S10_NSI_IJLi5ELi6ELi7EEEENSI_IJLi8ELi9ELi10EEEEEEENSI_IJLi5ELi6ELi7ELi8ELi9ELi10EEEElEENS_31BlockToCTileMap_M00_N00_M01_N01ILi128ELi128ES12_Lb0EEELb1ELb1EEEvPKT0_S25_PT1_T2_T3_T4_T5_,@function
_ZN2ck19kernel_gemm_dl_v1r3INS_28GridwiseGemmDl_km_kn_mn_v1r3ILi256EaiaLNS_25InMemoryDataOperationEnumE0ENS_16TensorDescriptorINS_5TupleIJNS_5EmbedINS4_IJiiEEENS4_IJNS_17integral_constantIiLi1EEEiEEELb0EEENS_7UnMergeINS4_IJiNS7_IiLi4EEEEEELb0EEENS_11PassThroughIiEEEEENS4_IJNS_8SequenceIJLi0EEEENSI_IJLi2EEEENSI_IJLi1EEEEEEENS4_IJNSI_IJLi1ELi2EEEENSI_IJLi3ELi4EEEENSI_IJLi5EEEEEEENSI_IJLi3ELi5ELi4EEEElEENS3_INS4_IJNS5_IS6_NS4_IJiS8_EEELb0EEESE_SG_EEENS4_IJSJ_SL_SK_EEESQ_SR_lEENS3_INS4_IJSU_SG_SG_EEESW_NS4_IJSN_NSI_IJLi3EEEENSI_IJLi4EEEEEEESO_lEELi128ELi128ELi16ELi4ELi4ELi4ELi1ENSI_IJLi8ELi2EEEES13_NSI_IJLi2ELi1ELi4ELi4EEEENSI_IJLi8ELi1ELi32ELi1EEEENSI_IJLi0ELi3ELi1ELi2EEEES16_NSI_IJLi1ELi1ELi4ELi1EEEES16_NSI_IJLi1ELi1ELi4ELi4EEEES14_S15_S16_S16_S17_S16_S18_NSI_IJLi0ELi1ELi2ELi3ELi4ELi5EEEELi5ELi4EEEaaNS3_INS4_IJSA_SE_SG_SG_NSB_INS4_IJiNS7_IiLi128EEEEEELb0EEENSF_ISC_EEEEENS4_IJSJ_SK_SL_SZ_SP_S10_EEENS4_IJSN_SO_SP_NSI_IJLi6EEEENSI_IJLi7ELi8EEEENSI_IJLi9EEEEEEENSI_IJLi6ELi7ELi8ELi9EEEElEENS3_INS4_IJSU_SE_SG_SG_S1D_S1E_EEENS4_IJSJ_SL_SK_SZ_SP_S10_EEES1K_S1L_lEENS3_INS4_IJSU_SG_SG_NSB_INS4_IJiNS7_IiLi2EEENS7_IiLi64EEEEEELb0EEES1T_EEENS4_IJSJ_SL_SK_SZ_S10_EEENS4_IJSN_SZ_S10_NSI_IJLi5ELi6ELi7EEEENSI_IJLi8ELi9ELi10EEEEEEENSI_IJLi5ELi6ELi7ELi8ELi9ELi10EEEElEENS_31BlockToCTileMap_M00_N00_M01_N01ILi128ELi128ES12_Lb0EEELb1ELb1EEEvPKT0_S25_PT1_T2_T3_T4_T5_: ; @_ZN2ck19kernel_gemm_dl_v1r3INS_28GridwiseGemmDl_km_kn_mn_v1r3ILi256EaiaLNS_25InMemoryDataOperationEnumE0ENS_16TensorDescriptorINS_5TupleIJNS_5EmbedINS4_IJiiEEENS4_IJNS_17integral_constantIiLi1EEEiEEELb0EEENS_7UnMergeINS4_IJiNS7_IiLi4EEEEEELb0EEENS_11PassThroughIiEEEEENS4_IJNS_8SequenceIJLi0EEEENSI_IJLi2EEEENSI_IJLi1EEEEEEENS4_IJNSI_IJLi1ELi2EEEENSI_IJLi3ELi4EEEENSI_IJLi5EEEEEEENSI_IJLi3ELi5ELi4EEEElEENS3_INS4_IJNS5_IS6_NS4_IJiS8_EEELb0EEESE_SG_EEENS4_IJSJ_SL_SK_EEESQ_SR_lEENS3_INS4_IJSU_SG_SG_EEESW_NS4_IJSN_NSI_IJLi3EEEENSI_IJLi4EEEEEEESO_lEELi128ELi128ELi16ELi4ELi4ELi4ELi1ENSI_IJLi8ELi2EEEES13_NSI_IJLi2ELi1ELi4ELi4EEEENSI_IJLi8ELi1ELi32ELi1EEEENSI_IJLi0ELi3ELi1ELi2EEEES16_NSI_IJLi1ELi1ELi4ELi1EEEES16_NSI_IJLi1ELi1ELi4ELi4EEEES14_S15_S16_S16_S17_S16_S18_NSI_IJLi0ELi1ELi2ELi3ELi4ELi5EEEELi5ELi4EEEaaNS3_INS4_IJSA_SE_SG_SG_NSB_INS4_IJiNS7_IiLi128EEEEEELb0EEENSF_ISC_EEEEENS4_IJSJ_SK_SL_SZ_SP_S10_EEENS4_IJSN_SO_SP_NSI_IJLi6EEEENSI_IJLi7ELi8EEEENSI_IJLi9EEEEEEENSI_IJLi6ELi7ELi8ELi9EEEElEENS3_INS4_IJSU_SE_SG_SG_S1D_S1E_EEENS4_IJSJ_SL_SK_SZ_SP_S10_EEES1K_S1L_lEENS3_INS4_IJSU_SG_SG_NSB_INS4_IJiNS7_IiLi2EEENS7_IiLi64EEEEEELb0EEES1T_EEENS4_IJSJ_SL_SK_SZ_S10_EEENS4_IJSN_SZ_S10_NSI_IJLi5ELi6ELi7EEEENSI_IJLi8ELi9ELi10EEEEEEENSI_IJLi5ELi6ELi7ELi8ELi9ELi10EEEElEENS_31BlockToCTileMap_M00_N00_M01_N01ILi128ELi128ES12_Lb0EEELb1ELb1EEEvPKT0_S25_PT1_T2_T3_T4_T5_
; %bb.0:
	s_load_dwordx4 s[20:23], s[0:1], 0x0
	s_load_dwordx2 s[4:5], s[0:1], 0x10
	s_load_dwordx4 s[16:19], s[0:1], 0x11c
	s_load_dword s29, s[0:1], 0x24
	s_load_dword s30, s[0:1], 0x38
	;; [unrolled: 1-line block ×6, first 2 shown]
	s_load_dwordx2 s[6:7], s[0:1], 0xd0
	s_load_dword s3, s[0:1], 0xec
	s_load_dwordx4 s[36:39], s[0:1], 0x130
	s_waitcnt lgkmcnt(0)
	s_load_dword s7, s[0:1], 0xfc
	s_load_dwordx4 s[24:27], s[0:1], 0x108
	s_mul_hi_u32 s0, s19, s2
	s_add_i32 s0, s2, s0
	v_lshrrev_b32_e32 v1, 4, v0
	s_lshr_b32 s0, s0, s39
	s_mul_hi_u32 s1, s0, s18
	s_add_i32 s1, s0, s1
	s_lshr_b32 s12, s1, s38
	s_mul_hi_u32 s8, s12, s17
	s_add_i32 s8, s12, s8
	;; [unrolled: 3-line block ×3, first 2 shown]
	s_lshr_b32 s8, s8, s36
	s_waitcnt lgkmcnt(0)
	s_mul_i32 s8, s8, s24
	s_mul_i32 s1, s12, s26
	s_sub_i32 s8, s13, s8
	s_sub_i32 s1, s0, s1
	s_mul_i32 s8, s8, s3
	s_add_i32 s1, s1, s8
	v_and_b32_e32 v6, 14, v1
	v_lshlrev_b32_e32 v1, 2, v0
	v_and_b32_e32 v44, 0x7c, v1
	s_lshl_b32 s1, s1, 7
	v_or_b32_e32 v2, s1, v44
	v_lshlrev_b32_e32 v7, 2, v6
	v_mad_u64_u32 v[4:5], s[8:9], s29, v7, v[2:3]
	v_lshrrev_b32_e32 v2, 5, v0
	v_lshlrev_b32_e32 v0, 1, v0
	v_and_b32_e32 v5, 0x1f8, v0
	v_and_b32_e32 v0, 0x1fc, v0
	v_lshlrev_b32_e32 v3, 6, v2
	v_sub_u32_e32 v0, v0, v5
	v_sub_u32_e32 v3, v5, v3
	v_lshl_add_u32 v35, v2, 3, v0
	v_mov_b32_e32 v34, 0
	v_and_or_b32 v37, v1, 4, v3
	v_lshlrev_b32_e32 v0, 2, v35
	v_mov_b32_e32 v1, v34
	v_mov_b32_e32 v2, v35
	s_mov_b32 s16, 0
	scratch_store_dwordx3 off, v[0:2], off offset:80
	v_mov_b32_e32 v3, v35
	s_mov_b32 s18, s16
	v_mov_b32_e32 v0, v34
	v_mov_b32_e32 v2, v34
	scratch_store_dwordx4 off, v[0:3], off offset:92
	s_mov_b32 s19, s16
	v_mov_b32_e32 v36, v34
	v_lshlrev_b32_e32 v1, 2, v37
	v_mov_b32_e32 v3, v37
	scratch_store_dwordx4 off, v[0:3], off offset:108
	s_mov_b32 s17, s16
	v_mov_b64_e32 v[40:41], s[18:19]
	v_mov_b32_e32 v1, v34
	s_mov_b64 s[8:9], src_shared_base
	scratch_store_dwordx4 off, v[34:37], off offset:64
	scratch_store_dwordx4 off, v[0:3], off offset:124
	scratch_store_dword off, v34, off offset:140
	v_mov_b64_e32 v[38:39], s[16:17]
	v_mov_b32_e32 v1, s9
	scratch_store_dwordx4 off, v[38:41], off offset:144
	scratch_store_dwordx4 off, v[38:41], off offset:160
	scratch_store_dwordx4 off, v[38:41], off offset:176
	scratch_store_dwordx4 off, v[38:41], off offset:192
	scratch_store_dwordx4 off, v[38:41], off offset:208
	scratch_store_dwordx4 off, v[38:41], off offset:224
	scratch_store_dwordx4 off, v[38:41], off offset:240
	scratch_store_dwordx4 off, v[38:41], off offset:256
	scratch_store_dwordx4 off, v[38:41], off offset:272
	scratch_store_dwordx4 off, v[38:41], off offset:288
	scratch_store_dwordx4 off, v[38:41], off offset:304
	scratch_store_dwordx4 off, v[38:41], off offset:320
	scratch_store_dwordx4 off, v[38:41], off offset:336
	scratch_store_dwordx4 off, v[38:41], off offset:352
	scratch_store_dwordx4 off, v[38:41], off offset:368
	scratch_store_dwordx4 off, v[38:41], off offset:384
	scratch_store_dwordx2 off, v[0:1], off offset:400
	scratch_store_byte off, v34, off offset:409
	v_mov_b32_e32 v0, 0x4000
	scratch_store_dwordx2 off, v[0:1], off offset:416
	scratch_store_byte off, v34, off offset:425
	v_mov_b32_e32 v0, 0x2000
	;; [unrolled: 3-line block ×3, first 2 shown]
	scratch_store_dwordx2 off, v[0:1], off offset:448
	scratch_store_byte off, v34, off offset:457
	s_mov_b32 s11, 0x20000
	s_mov_b32 s8, s20
	;; [unrolled: 1-line block ×3, first 2 shown]
	v_add_u32_e32 v1, s29, v4
	buffer_load_dword v2, v4, s[8:11], 0 offen
	buffer_load_dword v3, v1, s[8:11], 0 offen
	v_add_u32_e32 v0, s29, v1
	v_add_u32_e32 v5, s29, v0
	buffer_load_dword v8, v0, s[8:11], 0 offen
	buffer_load_dword v9, v5, s[8:11], 0 offen
	s_mul_i32 s0, s0, s27
	s_mul_i32 s13, s13, s25
	s_lshl_b32 s35, s29, 2
	s_sub_i32 s0, s2, s0
	s_sub_i32 s2, s12, s13
	v_add_u32_e32 v5, s35, v5
	s_mul_i32 s2, s2, s7
	v_add_u32_e32 v0, s35, v0
	buffer_load_dword v10, v5, s[8:11], 0 offen
	buffer_load_dword v11, v0, s[8:11], 0 offen
	s_add_i32 s0, s0, s2
	s_lshl_b32 s17, s0, 7
	v_add_u32_e32 v1, s35, v1
	v_or_b32_e32 v0, s17, v44
	v_add_u32_e32 v4, s35, v4
	buffer_load_dword v5, v1, s[8:11], 0 offen
	buffer_load_dword v12, v4, s[8:11], 0 offen
	v_mad_u64_u32 v[0:1], s[2:3], s33, v7, v[0:1]
	s_mov_b32 s12, s22
	s_mov_b32 s13, s23
	;; [unrolled: 1-line block ×3, first 2 shown]
	v_add_u32_e32 v1, s33, v0
	buffer_load_dword v4, v0, s[12:15], 0 offen
	buffer_load_dword v13, v1, s[12:15], 0 offen
	v_add_u32_e32 v14, s33, v1
	v_add_u32_e32 v15, s33, v14
	buffer_load_dword v16, v14, s[12:15], 0 offen
	buffer_load_dword v17, v15, s[12:15], 0 offen
	s_lshl_b32 s36, s33, 2
	v_add_u32_e32 v15, s36, v15
	v_add_u32_e32 v14, s36, v14
	buffer_load_dword v18, v15, s[12:15], 0 offen
	buffer_load_dword v19, v14, s[12:15], 0 offen
	v_add_u32_e32 v1, s36, v1
	v_add_u32_e32 v0, s36, v0
	buffer_load_dword v14, v1, s[12:15], 0 offen
	buffer_load_dword v15, v0, s[12:15], 0 offen
	s_movk_i32 s38, 0xff00
	v_lshlrev_b32_e32 v0, 2, v44
	s_movk_i32 s37, 0xff
	v_mov_b32_e32 v47, 8
	v_lshl_or_b32 v42, v6, 9, v0
	s_mov_b64 s[2:3], src_private_base
	s_mov_b32 s22, 64
	s_movk_i32 s2, 0x90
	s_mov_b32 s7, s3
	s_movk_i32 s27, 0x190
	;; [unrolled: 2-line block ×5, first 2 shown]
	s_mov_b32 s21, s3
	s_mov_b32 s39, 0
	;; [unrolled: 1-line block ×5, first 2 shown]
	s_sub_i32 s43, s30, 32
	s_lshl_b32 s44, s33, 7
	s_lshl_b32 s45, s29, 7
	s_movk_i32 s32, 0x1e0
	s_waitcnt vmcnt(15)
	v_and_b32_sdwa v0, v2, s37 dst_sel:DWORD dst_unused:UNUSED_PAD src0_sel:WORD_1 src1_sel:DWORD
	s_waitcnt vmcnt(14)
	v_and_b32_sdwa v1, v3, s38 dst_sel:DWORD dst_unused:UNUSED_PAD src0_sel:WORD_1 src1_sel:DWORD
	v_or_b32_sdwa v6, v2, v1 dst_sel:DWORD dst_unused:UNUSED_PAD src0_sel:BYTE_3 src1_sel:DWORD
	v_lshlrev_b16_sdwa v1, v47, v3 dst_sel:DWORD dst_unused:UNUSED_PAD src0_sel:DWORD src1_sel:WORD_1
	v_or_b32_e32 v20, v0, v1
	v_and_b32_e32 v0, 0xffffff00, v3
	v_or_b32_sdwa v1, v2, v0 dst_sel:DWORD dst_unused:UNUSED_PAD src0_sel:BYTE_1 src1_sel:DWORD
	s_waitcnt vmcnt(13)
	v_and_b32_sdwa v0, v8, s37 dst_sel:DWORD dst_unused:UNUSED_PAD src0_sel:WORD_1 src1_sel:DWORD
	s_waitcnt vmcnt(12)
	v_lshlrev_b16_sdwa v22, v47, v9 dst_sel:DWORD dst_unused:UNUSED_PAD src0_sel:DWORD src1_sel:WORD_1
	v_or_b32_sdwa v22, v0, v22 dst_sel:WORD_1 dst_unused:UNUSED_PAD src0_sel:DWORD src1_sel:DWORD
	v_and_b32_e32 v0, 0xffffff00, v9
	v_or_b32_sdwa v23, v8, v0 dst_sel:WORD_1 dst_unused:UNUSED_PAD src0_sel:BYTE_1 src1_sel:DWORD
	s_waitcnt vmcnt(11)
	v_and_b32_sdwa v0, v10, s38 dst_sel:DWORD dst_unused:UNUSED_PAD src0_sel:WORD_1 src1_sel:DWORD
	s_waitcnt vmcnt(10)
	v_or_b32_sdwa v24, v11, v0 dst_sel:WORD_1 dst_unused:UNUSED_PAD src0_sel:BYTE_3 src1_sel:DWORD
	v_lshlrev_b16_sdwa v0, v47, v10 dst_sel:DWORD dst_unused:UNUSED_PAD src0_sel:DWORD src1_sel:WORD_1
	v_and_b32_sdwa v25, v11, s37 dst_sel:DWORD dst_unused:UNUSED_PAD src0_sel:WORD_1 src1_sel:DWORD
	v_or_b32_sdwa v25, v25, v0 dst_sel:WORD_1 dst_unused:UNUSED_PAD src0_sel:DWORD src1_sel:DWORD
	v_and_b32_e32 v0, 0xffffff00, v10
	v_or_b32_sdwa v26, v11, v0 dst_sel:WORD_1 dst_unused:UNUSED_PAD src0_sel:BYTE_1 src1_sel:DWORD
	s_waitcnt vmcnt(9)
	v_and_b32_sdwa v0, v5, s38 dst_sel:DWORD dst_unused:UNUSED_PAD src0_sel:WORD_1 src1_sel:DWORD
	s_waitcnt vmcnt(8)
	v_or_b32_sdwa v27, v12, v0 dst_sel:DWORD dst_unused:UNUSED_PAD src0_sel:BYTE_3 src1_sel:DWORD
	v_lshlrev_b16_sdwa v0, v47, v5 dst_sel:DWORD dst_unused:UNUSED_PAD src0_sel:DWORD src1_sel:WORD_1
	v_and_b32_sdwa v28, v12, s37 dst_sel:DWORD dst_unused:UNUSED_PAD src0_sel:WORD_1 src1_sel:DWORD
	v_or_b32_e32 v28, v28, v0
	v_and_b32_e32 v0, 0xffffff00, v5
	v_or_b32_sdwa v29, v12, v0 dst_sel:DWORD dst_unused:UNUSED_PAD src0_sel:BYTE_1 src1_sel:DWORD
	s_waitcnt vmcnt(7)
	v_and_b32_sdwa v0, v4, s37 dst_sel:DWORD dst_unused:UNUSED_PAD src0_sel:WORD_1 src1_sel:DWORD
	s_waitcnt vmcnt(6)
	v_lshlrev_b16_sdwa v31, v47, v13 dst_sel:DWORD dst_unused:UNUSED_PAD src0_sel:DWORD src1_sel:WORD_1
	v_or_b32_e32 v31, v0, v31
	v_and_b32_e32 v0, 0xffffff00, v13
	v_or_b32_sdwa v32, v4, v0 dst_sel:DWORD dst_unused:UNUSED_PAD src0_sel:BYTE_1 src1_sel:DWORD
	s_waitcnt vmcnt(5)
	v_and_b32_sdwa v0, v16, s37 dst_sel:DWORD dst_unused:UNUSED_PAD src0_sel:WORD_1 src1_sel:DWORD
	s_waitcnt vmcnt(4)
	v_lshlrev_b16_sdwa v36, v47, v17 dst_sel:DWORD dst_unused:UNUSED_PAD src0_sel:DWORD src1_sel:WORD_1
	v_or_b32_sdwa v36, v0, v36 dst_sel:WORD_1 dst_unused:UNUSED_PAD src0_sel:DWORD src1_sel:DWORD
	v_and_b32_e32 v0, 0xffffff00, v17
	v_or_b32_sdwa v45, v16, v0 dst_sel:WORD_1 dst_unused:UNUSED_PAD src0_sel:BYTE_1 src1_sel:DWORD
	s_waitcnt vmcnt(3)
	v_and_b32_sdwa v0, v18, s38 dst_sel:DWORD dst_unused:UNUSED_PAD src0_sel:WORD_1 src1_sel:DWORD
	s_waitcnt vmcnt(2)
	v_or_b32_sdwa v46, v19, v0 dst_sel:WORD_1 dst_unused:UNUSED_PAD src0_sel:BYTE_3 src1_sel:DWORD
	v_lshlrev_b16_sdwa v0, v47, v18 dst_sel:DWORD dst_unused:UNUSED_PAD src0_sel:DWORD src1_sel:WORD_1
	v_and_b32_sdwa v43, v19, s37 dst_sel:DWORD dst_unused:UNUSED_PAD src0_sel:WORD_1 src1_sel:DWORD
	v_or_b32_sdwa v48, v43, v0 dst_sel:WORD_1 dst_unused:UNUSED_PAD src0_sel:DWORD src1_sel:DWORD
	v_and_b32_e32 v0, 0xffffff00, v18
	v_or_b32_sdwa v49, v19, v0 dst_sel:WORD_1 dst_unused:UNUSED_PAD src0_sel:BYTE_1 src1_sel:DWORD
	s_waitcnt vmcnt(1)
	v_and_b32_sdwa v0, v14, s38 dst_sel:DWORD dst_unused:UNUSED_PAD src0_sel:WORD_1 src1_sel:DWORD
	s_waitcnt vmcnt(0)
	v_or_b32_sdwa v50, v15, v0 dst_sel:DWORD dst_unused:UNUSED_PAD src0_sel:BYTE_3 src1_sel:DWORD
	v_lshlrev_b16_sdwa v0, v47, v14 dst_sel:DWORD dst_unused:UNUSED_PAD src0_sel:DWORD src1_sel:WORD_1
	v_and_b32_sdwa v43, v15, s37 dst_sel:DWORD dst_unused:UNUSED_PAD src0_sel:WORD_1 src1_sel:DWORD
	v_or_b32_e32 v51, v43, v0
	v_and_b32_e32 v0, 0xffffff00, v14
	v_or_b32_sdwa v52, v15, v0 dst_sel:DWORD dst_unused:UNUSED_PAD src0_sel:BYTE_1 src1_sel:DWORD
	v_lshlrev_b16_e32 v0, 8, v3
	v_and_b32_sdwa v21, v9, s38 dst_sel:DWORD dst_unused:UNUSED_PAD src0_sel:WORD_1 src1_sel:DWORD
	v_or_b32_sdwa v0, v2, v0 dst_sel:DWORD dst_unused:UNUSED_PAD src0_sel:BYTE_0 src1_sel:DWORD
	v_lshlrev_b16_e32 v2, 8, v9
	v_or_b32_sdwa v21, v8, v21 dst_sel:WORD_1 dst_unused:UNUSED_PAD src0_sel:BYTE_3 src1_sel:DWORD
	v_or_b32_sdwa v2, v8, v2 dst_sel:WORD_1 dst_unused:UNUSED_PAD src0_sel:BYTE_0 src1_sel:DWORD
	v_or_b32_sdwa v1, v1, v23 dst_sel:DWORD dst_unused:UNUSED_PAD src0_sel:WORD_0 src1_sel:DWORD
	v_or_b32_sdwa v0, v0, v2 dst_sel:DWORD dst_unused:UNUSED_PAD src0_sel:WORD_0 src1_sel:DWORD
	;; [unrolled: 1-line block ×4, first 2 shown]
	ds_write_b128 v42, v[0:3]
	v_lshlrev_b16_e32 v0, 8, v5
	v_lshlrev_b16_e32 v1, 8, v10
	v_or_b32_sdwa v0, v12, v0 dst_sel:DWORD dst_unused:UNUSED_PAD src0_sel:BYTE_0 src1_sel:DWORD
	v_or_b32_sdwa v1, v11, v1 dst_sel:WORD_1 dst_unused:UNUSED_PAD src0_sel:BYTE_0 src1_sel:DWORD
	v_or_b32_sdwa v2, v28, v25 dst_sel:DWORD dst_unused:UNUSED_PAD src0_sel:WORD_0 src1_sel:DWORD
	v_or_b32_sdwa v0, v0, v1 dst_sel:DWORD dst_unused:UNUSED_PAD src0_sel:WORD_0 src1_sel:DWORD
	;; [unrolled: 1-line block ×4, first 2 shown]
	v_and_b32_sdwa v30, v13, s38 dst_sel:DWORD dst_unused:UNUSED_PAD src0_sel:WORD_1 src1_sel:DWORD
	v_and_b32_sdwa v33, v17, s38 dst_sel:DWORD dst_unused:UNUSED_PAD src0_sel:WORD_1 src1_sel:DWORD
	ds_write_b128 v42, v[0:3] offset:512
	v_lshlrev_b16_e32 v0, 8, v13
	v_lshlrev_b16_e32 v1, 8, v17
	v_or_b32_sdwa v30, v4, v30 dst_sel:DWORD dst_unused:UNUSED_PAD src0_sel:BYTE_3 src1_sel:DWORD
	v_or_b32_sdwa v33, v16, v33 dst_sel:WORD_1 dst_unused:UNUSED_PAD src0_sel:BYTE_3 src1_sel:DWORD
	v_or_b32_sdwa v0, v4, v0 dst_sel:DWORD dst_unused:UNUSED_PAD src0_sel:BYTE_0 src1_sel:DWORD
	v_or_b32_sdwa v1, v16, v1 dst_sel:WORD_1 dst_unused:UNUSED_PAD src0_sel:BYTE_0 src1_sel:DWORD
	v_or_b32_sdwa v2, v31, v36 dst_sel:DWORD dst_unused:UNUSED_PAD src0_sel:WORD_0 src1_sel:DWORD
	v_or_b32_sdwa v0, v0, v1 dst_sel:DWORD dst_unused:UNUSED_PAD src0_sel:WORD_0 src1_sel:DWORD
	v_or_b32_sdwa v1, v32, v45 dst_sel:DWORD dst_unused:UNUSED_PAD src0_sel:WORD_0 src1_sel:DWORD
	v_or_b32_sdwa v3, v30, v33 dst_sel:DWORD dst_unused:UNUSED_PAD src0_sel:WORD_0 src1_sel:DWORD
	ds_write_b128 v42, v[0:3] offset:16384
	v_lshlrev_b16_e32 v0, 8, v14
	v_lshlrev_b16_e32 v1, 8, v18
	v_or_b32_sdwa v0, v15, v0 dst_sel:DWORD dst_unused:UNUSED_PAD src0_sel:BYTE_0 src1_sel:DWORD
	v_or_b32_sdwa v1, v19, v1 dst_sel:WORD_1 dst_unused:UNUSED_PAD src0_sel:BYTE_0 src1_sel:DWORD
	v_or_b32_sdwa v2, v51, v48 dst_sel:DWORD dst_unused:UNUSED_PAD src0_sel:WORD_0 src1_sel:DWORD
	v_or_b32_sdwa v0, v0, v1 dst_sel:DWORD dst_unused:UNUSED_PAD src0_sel:WORD_0 src1_sel:DWORD
	;; [unrolled: 1-line block ×4, first 2 shown]
	ds_write_b128 v42, v[0:3] offset:16896
	v_or_b32_e32 v0, 7, v7
	v_mul_lo_u32 v1, s33, v0
	v_mov_b32_e32 v43, v34
	v_add_u32_e32 v34, s17, v1
	v_or_b32_e32 v1, 6, v7
	v_mul_lo_u32 v2, s33, v1
	v_add_u32_e32 v36, s17, v2
	v_or_b32_e32 v2, 5, v7
	v_mul_lo_u32 v3, s33, v2
	;; [unrolled: 3-line block ×9, first 2 shown]
	v_mul_lo_u32 v0, s29, v0
	v_add_u32_e32 v57, s17, v11
	v_or_b32_e32 v11, 0x81, v7
	v_add_u32_e32 v48, s1, v0
	v_mul_lo_u32 v0, s29, v1
	v_mul_lo_u32 v12, s33, v11
	v_add_u32_e32 v49, s1, v0
	v_mul_lo_u32 v0, s29, v2
	v_add_u32_e32 v58, s17, v12
	v_or_b32_e32 v12, 0x80, v7
	v_add_u32_e32 v50, s1, v0
	v_mul_lo_u32 v0, s29, v3
	v_mul_lo_u32 v13, s33, v12
	v_add_u32_e32 v51, s1, v0
	;; [unrolled: 7-line block ×8, first 2 shown]
	v_mul_lo_u32 v0, s29, v17
	v_add_u32_e32 v65, s17, v19
	v_or_b32_e32 v19, 0x41, v7
	v_add_u32_e32 v80, s1, v0
	v_mul_lo_u32 v0, s29, v18
	v_mul_lo_u32 v20, s33, v19
	v_or_b32_e32 v7, 64, v7
	v_add_u32_e32 v81, s1, v0
	v_mul_lo_u32 v0, s29, v19
	v_add_u32_e32 v66, s17, v20
	v_mul_lo_u32 v20, s33, v7
	;; [unrolled: 2-line block ×3, first 2 shown]
	v_add_u32_e32 v67, s17, v20
	v_add_u32_e32 v83, s1, v0
.LBB2_1:                                ; =>This Inner Loop Header: Depth=1
	v_add_u32_e32 v0, v44, v83
	v_add_u32_e32 v2, v44, v82
	;; [unrolled: 1-line block ×9, first 2 shown]
	buffer_load_dword v104, v0, s[8:11], 0 offen
	buffer_load_dword v105, v2, s[8:11], 0 offen
	;; [unrolled: 1-line block ×8, first 2 shown]
	v_add_u32_e32 v0, v44, v66
	v_add_u32_e32 v2, v44, v65
	v_add_u32_e32 v3, v44, v64
	v_add_u32_e32 v4, v44, v63
	v_add_u32_e32 v5, v44, v62
	v_add_u32_e32 v6, v44, v61
	v_add_u32_e32 v7, v44, v60
	buffer_load_dword v84, v1, s[12:15], 0 offen
	buffer_load_dword v112, v0, s[12:15], 0 offen
	;; [unrolled: 1-line block ×8, first 2 shown]
	s_waitcnt lgkmcnt(0)
	s_barrier
	scratch_load_dword v0, off, off offset:80
	scratch_load_dwordx2 v[2:3], off, off offset:400
	s_nop 0
	scratch_store_dwordx4 off, v[38:41], off
	scratch_store_dwordx4 off, v[38:41], off offset:16
	scratch_store_dwordx4 off, v[38:41], off offset:32
	;; [unrolled: 1-line block ×3, first 2 shown]
	scratch_load_dword v4, off, off offset:112
	scratch_load_dwordx2 v[6:7], off, off offset:416
	s_getpc_b64 s[18:19]
	s_add_u32 s18, s18, _ZNK2ck6detail15static_for_implINS_8SequenceIJLi1ELi2ELi3ELi4ELi5ELi6ELi7ELi8ELi9ELi10ELi11ELi12ELi13ELi14ELi15EEEEEclIZNKS_80BlockwiseGemmDl_A_BK0_BM_BK1_B_BK0_BN_BK1_C_BM0_BM1_BN0_BN1_pipeline_BM0_2_BN0_2ILi256EaaiKNS_16TensorDescriptorINS_5TupleIJNS_5EmbedINS8_IJNS_17integral_constantIiLi16EEENSA_IiLi128EEENSA_IiLi4EEEEEENS8_IJNSA_IiLi512EEESD_NSA_IiLi1EEEEEELb0EEEEEENS8_IJNS2_IJLi0EEEEEEENS8_IJNS2_IJLi1ELi2ELi3EEEEEEESM_NSA_IlLl8192EEEEESQ_Li4ELi4ELi1ENS2_IJLi8ELi2EEEESR_Li4ELi4ELb0EE3RunINS7_INS8_IJNS_7UnMergeINS8_IJNSA_IiLi2EEESD_SV_SD_EEELb0EEEEEESL_NS8_IJNS2_IJLi1ELi2ELi3ELi4EEEEEEESZ_NSA_IlLl64EEEEENS_13DynamicBufferILNS_16AddressSpaceEnumE2EaSO_Lb1ELNS_22AmdBufferCoherenceEnumE0EiEES16_NS_12StaticBufferILS14_4EiLi64ELb1EEEEEvRKT_RKT0_RKT1_RT2_EUlS19_E_EEvS19_@rel32@lo+4
	s_addc_u32 s19, s19, _ZNK2ck6detail15static_for_implINS_8SequenceIJLi1ELi2ELi3ELi4ELi5ELi6ELi7ELi8ELi9ELi10ELi11ELi12ELi13ELi14ELi15EEEEEclIZNKS_80BlockwiseGemmDl_A_BK0_BM_BK1_B_BK0_BN_BK1_C_BM0_BM1_BN0_BN1_pipeline_BM0_2_BN0_2ILi256EaaiKNS_16TensorDescriptorINS_5TupleIJNS_5EmbedINS8_IJNS_17integral_constantIiLi16EEENSA_IiLi128EEENSA_IiLi4EEEEEENS8_IJNSA_IiLi512EEESD_NSA_IiLi1EEEEEELb0EEEEEENS8_IJNS2_IJLi0EEEEEEENS8_IJNS2_IJLi1ELi2ELi3EEEEEEESM_NSA_IlLl8192EEEEESQ_Li4ELi4ELi1ENS2_IJLi8ELi2EEEESR_Li4ELi4ELb0EE3RunINS7_INS8_IJNS_7UnMergeINS8_IJNSA_IiLi2EEESD_SV_SD_EEELb0EEEEEESL_NS8_IJNS2_IJLi1ELi2ELi3ELi4EEEEEEESZ_NSA_IlLl64EEEEENS_13DynamicBufferILNS_16AddressSpaceEnumE2EaSO_Lb1ELNS_22AmdBufferCoherenceEnumE0EiEES16_NS_12StaticBufferILS14_4EiLi64ELb1EEEEEvRKT_RKT0_RKT1_RT2_EUlS19_E_EEvS19_@rel32@hi+12
	s_waitcnt vmcnt(0)
	v_and_b32_sdwa v116, v104, s37 dst_sel:DWORD dst_unused:UNUSED_PAD src0_sel:WORD_1 src1_sel:DWORD
	s_waitcnt vmcnt(22)
	v_and_b32_sdwa v117, v105, s38 dst_sel:DWORD dst_unused:UNUSED_PAD src0_sel:WORD_1 src1_sel:DWORD
	v_lshlrev_b16_sdwa v118, v47, v105 dst_sel:DWORD dst_unused:UNUSED_PAD src0_sel:DWORD src1_sel:WORD_1
	v_and_b32_e32 v119, 0xffffff00, v105
	s_waitcnt vmcnt(21)
	v_and_b32_sdwa v120, v108, s37 dst_sel:DWORD dst_unused:UNUSED_PAD src0_sel:WORD_1 src1_sel:DWORD
	s_waitcnt vmcnt(20)
	v_and_b32_sdwa v121, v106, s38 dst_sel:DWORD dst_unused:UNUSED_PAD src0_sel:WORD_1 src1_sel:DWORD
	v_lshlrev_b16_sdwa v122, v47, v106 dst_sel:DWORD dst_unused:UNUSED_PAD src0_sel:DWORD src1_sel:WORD_1
	v_and_b32_e32 v123, 0xffffff00, v106
	s_waitcnt vmcnt(19)
	v_and_b32_sdwa v124, v107, s38 dst_sel:DWORD dst_unused:UNUSED_PAD src0_sel:WORD_1 src1_sel:DWORD
	v_lshlrev_b16_sdwa v125, v47, v107 dst_sel:DWORD dst_unused:UNUSED_PAD src0_sel:DWORD src1_sel:WORD_1
	s_waitcnt vmcnt(18)
	v_and_b32_sdwa v126, v109, s37 dst_sel:DWORD dst_unused:UNUSED_PAD src0_sel:WORD_1 src1_sel:DWORD
	v_and_b32_e32 v127, 0xffffff00, v107
	s_waitcnt vmcnt(17)
	v_and_b32_sdwa v128, v110, s38 dst_sel:DWORD dst_unused:UNUSED_PAD src0_sel:WORD_1 src1_sel:DWORD
	v_lshlrev_b16_sdwa v129, v47, v110 dst_sel:DWORD dst_unused:UNUSED_PAD src0_sel:DWORD src1_sel:WORD_1
	s_waitcnt vmcnt(16)
	v_and_b32_sdwa v130, v111, s37 dst_sel:DWORD dst_unused:UNUSED_PAD src0_sel:WORD_1 src1_sel:DWORD
	v_and_b32_e32 v131, 0xffffff00, v110
	s_waitcnt vmcnt(15)
	v_and_b32_sdwa v132, v84, s37 dst_sel:DWORD dst_unused:UNUSED_PAD src0_sel:WORD_1 src1_sel:DWORD
	s_waitcnt vmcnt(7)
	v_ashrrev_i32_e32 v1, 31, v0
	s_waitcnt vmcnt(6)
	v_lshl_add_u64 v[32:33], v[2:3], 0, v[0:1]
	flat_load_dwordx4 v[0:3], v[32:33]
	s_waitcnt vmcnt(0)
	v_ashrrev_i32_e32 v5, 31, v4
	v_lshl_add_u64 v[8:9], v[6:7], 0, v[4:5]
	v_and_b32_e32 v133, 0xffffff00, v112
	v_and_b32_sdwa v134, v85, s37 dst_sel:DWORD dst_unused:UNUSED_PAD src0_sel:WORD_1 src1_sel:DWORD
	v_and_b32_sdwa v135, v113, s38 dst_sel:DWORD dst_unused:UNUSED_PAD src0_sel:WORD_1 src1_sel:DWORD
	v_lshlrev_b16_sdwa v136, v47, v113 dst_sel:DWORD dst_unused:UNUSED_PAD src0_sel:DWORD src1_sel:WORD_1
	v_and_b32_e32 v137, 0xffffff00, v113
	v_and_b32_sdwa v138, v114, s38 dst_sel:DWORD dst_unused:UNUSED_PAD src0_sel:WORD_1 src1_sel:DWORD
	v_lshlrev_b16_sdwa v139, v47, v114 dst_sel:DWORD dst_unused:UNUSED_PAD src0_sel:DWORD src1_sel:WORD_1
	v_and_b32_sdwa v140, v86, s37 dst_sel:DWORD dst_unused:UNUSED_PAD src0_sel:WORD_1 src1_sel:DWORD
	v_and_b32_e32 v141, 0xffffff00, v114
	v_and_b32_sdwa v142, v115, s38 dst_sel:DWORD dst_unused:UNUSED_PAD src0_sel:WORD_1 src1_sel:DWORD
	v_lshlrev_b16_sdwa v143, v47, v115 dst_sel:DWORD dst_unused:UNUSED_PAD src0_sel:DWORD src1_sel:WORD_1
	v_and_b32_sdwa v144, v87, s37 dst_sel:DWORD dst_unused:UNUSED_PAD src0_sel:WORD_1 src1_sel:DWORD
	v_and_b32_e32 v145, 0xffffff00, v115
	v_or_b32_sdwa v117, v104, v117 dst_sel:DWORD dst_unused:UNUSED_PAD src0_sel:BYTE_3 src1_sel:DWORD
	v_or_b32_e32 v116, v116, v118
	v_or_b32_sdwa v118, v104, v119 dst_sel:DWORD dst_unused:UNUSED_PAD src0_sel:BYTE_1 src1_sel:DWORD
	v_or_b32_sdwa v119, v108, v121 dst_sel:WORD_1 dst_unused:UNUSED_PAD src0_sel:BYTE_3 src1_sel:DWORD
	v_or_b32_sdwa v120, v120, v122 dst_sel:WORD_1 dst_unused:UNUSED_PAD src0_sel:DWORD src1_sel:DWORD
	v_or_b32_sdwa v121, v108, v123 dst_sel:WORD_1 dst_unused:UNUSED_PAD src0_sel:BYTE_1 src1_sel:DWORD
	v_or_b32_sdwa v122, v109, v124 dst_sel:WORD_1 dst_unused:UNUSED_PAD src0_sel:BYTE_3 src1_sel:DWORD
	v_or_b32_sdwa v123, v126, v125 dst_sel:WORD_1 dst_unused:UNUSED_PAD src0_sel:DWORD src1_sel:DWORD
	v_or_b32_sdwa v124, v109, v127 dst_sel:WORD_1 dst_unused:UNUSED_PAD src0_sel:BYTE_1 src1_sel:DWORD
	v_or_b32_sdwa v125, v111, v128 dst_sel:DWORD dst_unused:UNUSED_PAD src0_sel:BYTE_3 src1_sel:DWORD
	v_or_b32_e32 v126, v130, v129
	v_or_b32_sdwa v127, v111, v131 dst_sel:DWORD dst_unused:UNUSED_PAD src0_sel:BYTE_1 src1_sel:DWORD
	v_or_b32_sdwa v130, v84, v133 dst_sel:DWORD dst_unused:UNUSED_PAD src0_sel:BYTE_1 src1_sel:DWORD
	v_or_b32_sdwa v131, v85, v135 dst_sel:WORD_1 dst_unused:UNUSED_PAD src0_sel:BYTE_3 src1_sel:DWORD
	v_or_b32_sdwa v133, v85, v137 dst_sel:WORD_1 dst_unused:UNUSED_PAD src0_sel:BYTE_1 src1_sel:DWORD
	v_or_b32_sdwa v135, v140, v139 dst_sel:WORD_1 dst_unused:UNUSED_PAD src0_sel:DWORD src1_sel:DWORD
	v_or_b32_sdwa v137, v87, v142 dst_sel:DWORD dst_unused:UNUSED_PAD src0_sel:BYTE_3 src1_sel:DWORD
	v_or_b32_sdwa v139, v87, v145 dst_sel:DWORD dst_unused:UNUSED_PAD src0_sel:BYTE_1 src1_sel:DWORD
	s_waitcnt lgkmcnt(0)
	scratch_store_dwordx4 off, v[0:3], off
	flat_load_dwordx4 v[4:7], v[8:9]
	s_waitcnt vmcnt(0) lgkmcnt(0)
	scratch_store_dwordx4 off, v[4:7], off offset:32
	flat_load_dwordx4 v[8:11], v[8:9] offset:256
	s_nop 0
	scratch_load_dwordx4 v[12:15], off, off offset:144
	scratch_load_dwordx4 v[16:19], off, off offset:176
	;; [unrolled: 1-line block ×8, first 2 shown]
	s_waitcnt vmcnt(0)
	v_dot4c_i32_i8_e32 v12, v0, v4
	s_waitcnt lgkmcnt(0)
	scratch_store_dwordx4 off, v[8:11], off offset:48
	flat_load_dwordx4 v[100:103], v[32:33] offset:256
	v_and_b32_sdwa v32, v112, s38 dst_sel:DWORD dst_unused:UNUSED_PAD src0_sel:WORD_1 src1_sel:DWORD
	v_lshlrev_b16_sdwa v33, v47, v112 dst_sel:DWORD dst_unused:UNUSED_PAD src0_sel:DWORD src1_sel:WORD_1
	v_dot4c_i32_i8_e32 v13, v0, v5
	v_dot4c_i32_i8_e32 v14, v0, v6
	;; [unrolled: 1-line block ×31, first 2 shown]
	v_mov_b32_e32 v0, s22
	v_mov_b32_e32 v1, s3
	;; [unrolled: 1-line block ×12, first 2 shown]
	v_or_b32_sdwa v128, v84, v32 dst_sel:DWORD dst_unused:UNUSED_PAD src0_sel:BYTE_3 src1_sel:DWORD
	v_or_b32_e32 v129, v132, v33
	v_or_b32_sdwa v132, v134, v136 dst_sel:WORD_1 dst_unused:UNUSED_PAD src0_sel:DWORD src1_sel:DWORD
	v_or_b32_sdwa v134, v86, v138 dst_sel:WORD_1 dst_unused:UNUSED_PAD src0_sel:BYTE_3 src1_sel:DWORD
	v_or_b32_sdwa v136, v86, v141 dst_sel:WORD_1 dst_unused:UNUSED_PAD src0_sel:BYTE_1 src1_sel:DWORD
	v_or_b32_e32 v138, v144, v143
	scratch_store_dwordx4 off, v[12:15], off offset:144
	scratch_store_dwordx4 off, v[16:19], off offset:176
	;; [unrolled: 1-line block ×8, first 2 shown]
	s_waitcnt vmcnt(0) lgkmcnt(0)
	scratch_store_dwordx4 off, v[100:103], off offset:16
	s_swappc_b64 s[30:31], s[18:19]
	scratch_load_dword v140, off, off offset:16
	scratch_load_dword v141, off, off offset:32
	scratch_load_dwordx4 v[0:3], off, off offset:272
	scratch_load_dwordx4 v[4:7], off, off offset:32
	;; [unrolled: 1-line block ×6, first 2 shown]
	scratch_load_dword v4, off, off offset:48
	scratch_load_dwordx4 v[24:27], off, off offset:288
	scratch_load_dwordx4 v[28:31], off, off offset:48
	;; [unrolled: 1-line block ×5, first 2 shown]
	scratch_load_dwordx2 v[32:33], off, off offset:432
	s_waitcnt vmcnt(10)
	v_lshlrev_b16_e32 v8, 8, v105
	s_waitcnt vmcnt(4)
	v_lshlrev_b16_e32 v28, 8, v106
	v_lshlrev_b16_e32 v100, 8, v110
	;; [unrolled: 1-line block ×3, first 2 shown]
	v_or_b32_sdwa v8, v104, v8 dst_sel:DWORD dst_unused:UNUSED_PAD src0_sel:BYTE_0 src1_sel:DWORD
	v_or_b32_sdwa v28, v108, v28 dst_sel:WORD_1 dst_unused:UNUSED_PAD src0_sel:BYTE_0 src1_sel:DWORD
	v_or_b32_sdwa v104, v111, v100 dst_sel:DWORD dst_unused:UNUSED_PAD src0_sel:BYTE_0 src1_sel:DWORD
	v_or_b32_sdwa v108, v109, v110 dst_sel:WORD_1 dst_unused:UNUSED_PAD src0_sel:BYTE_0 src1_sel:DWORD
	v_or_b32_sdwa v101, v118, v121 dst_sel:DWORD dst_unused:UNUSED_PAD src0_sel:WORD_0 src1_sel:DWORD
	v_or_b32_sdwa v102, v116, v120 dst_sel:DWORD dst_unused:UNUSED_PAD src0_sel:WORD_0 src1_sel:DWORD
	;; [unrolled: 1-line block ×8, first 2 shown]
	v_dot4c_i32_i8_e32 v0, v140, v141
	v_dot4c_i32_i8_e32 v1, v140, v5
	;; [unrolled: 1-line block ×20, first 2 shown]
	s_waitcnt vmcnt(3)
	v_dot4c_i32_i8_e32 v88, v9, v4
	v_dot4c_i32_i8_e32 v89, v9, v29
	v_dot4c_i32_i8_e32 v90, v9, v30
	v_dot4c_i32_i8_e32 v91, v9, v31
	s_waitcnt vmcnt(2)
	v_dot4c_i32_i8_e32 v92, v10, v4
	v_dot4c_i32_i8_e32 v93, v10, v29
	v_dot4c_i32_i8_e32 v94, v10, v30
	v_dot4c_i32_i8_e32 v95, v10, v31
	;; [unrolled: 5-line block ×3, first 2 shown]
	s_waitcnt vmcnt(0)
	v_lshl_add_u64 v[4:5], v[32:33], 0, v[42:43]
	scratch_store_dwordx4 off, v[0:3], off offset:272
	scratch_store_dwordx4 off, v[12:15], off offset:304
	scratch_store_dwordx4 off, v[16:19], off offset:336
	scratch_store_dwordx4 off, v[20:23], off offset:368
	scratch_store_dwordx4 off, v[24:27], off offset:288
	scratch_store_dwordx4 off, v[88:91], off offset:320
	scratch_store_dwordx4 off, v[92:95], off offset:352
	scratch_store_dwordx4 off, v[96:99], off offset:384
	flat_store_dwordx4 v[4:5], v[100:103]
	flat_store_dwordx4 v[4:5], v[104:107] offset:512
	scratch_load_dwordx2 v[8:9], off, off offset:448
	v_lshlrev_b16_e32 v0, 8, v112
	v_lshlrev_b16_e32 v4, 8, v113
	;; [unrolled: 1-line block ×4, first 2 shown]
	v_or_b32_sdwa v0, v84, v0 dst_sel:DWORD dst_unused:UNUSED_PAD src0_sel:BYTE_0 src1_sel:DWORD
	v_or_b32_sdwa v4, v85, v4 dst_sel:WORD_1 dst_unused:UNUSED_PAD src0_sel:BYTE_0 src1_sel:DWORD
	v_or_b32_sdwa v10, v87, v10 dst_sel:DWORD dst_unused:UNUSED_PAD src0_sel:BYTE_0 src1_sel:DWORD
	v_or_b32_sdwa v11, v86, v11 dst_sel:WORD_1 dst_unused:UNUSED_PAD src0_sel:BYTE_0 src1_sel:DWORD
	v_or_b32_sdwa v1, v130, v133 dst_sel:DWORD dst_unused:UNUSED_PAD src0_sel:WORD_0 src1_sel:DWORD
	v_or_b32_sdwa v2, v129, v132 dst_sel:DWORD dst_unused:UNUSED_PAD src0_sel:WORD_0 src1_sel:DWORD
	v_or_b32_sdwa v3, v128, v131 dst_sel:DWORD dst_unused:UNUSED_PAD src0_sel:WORD_0 src1_sel:DWORD
	v_or_b32_sdwa v0, v0, v4 dst_sel:DWORD dst_unused:UNUSED_PAD src0_sel:WORD_0 src1_sel:DWORD
	v_or_b32_sdwa v4, v10, v11 dst_sel:DWORD dst_unused:UNUSED_PAD src0_sel:WORD_0 src1_sel:DWORD
	v_or_b32_sdwa v5, v139, v136 dst_sel:DWORD dst_unused:UNUSED_PAD src0_sel:WORD_0 src1_sel:DWORD
	v_or_b32_sdwa v6, v138, v135 dst_sel:DWORD dst_unused:UNUSED_PAD src0_sel:WORD_0 src1_sel:DWORD
	v_or_b32_sdwa v7, v137, v134 dst_sel:DWORD dst_unused:UNUSED_PAD src0_sel:WORD_0 src1_sel:DWORD
	v_add_u32_e32 v12, v44, v75
	v_add_u32_e32 v13, v44, v59
	;; [unrolled: 1-line block ×16, first 2 shown]
	s_waitcnt vmcnt(0)
	v_lshl_add_u64 v[10:11], v[8:9], 0, v[42:43]
	flat_store_dwordx4 v[10:11], v[0:3]
	flat_store_dwordx4 v[10:11], v[4:7] offset:512
	buffer_load_dword v104, v12, s[8:11], 0 offen
	buffer_load_dword v105, v14, s[8:11], 0 offen
	;; [unrolled: 1-line block ×15, first 2 shown]
                                        ; kill: killed $vgpr17
                                        ; kill: killed $vgpr18
                                        ; kill: killed $vgpr13
                                        ; kill: killed $vgpr21
                                        ; kill: killed $vgpr24
                                        ; kill: killed $vgpr16
                                        ; kill: killed $vgpr25
                                        ; kill: killed $vgpr19
                                        ; kill: killed $vgpr20
                                        ; kill: killed $vgpr15
                                        ; kill: killed $vgpr23
                                        ; kill: killed $vgpr12
                                        ; kill: killed $vgpr26
                                        ; kill: killed $vgpr22
                                        ; kill: killed $vgpr14
	buffer_load_dword v87, v27, s[12:15], 0 offen
	s_waitcnt lgkmcnt(0)
	s_barrier
	scratch_load_dword v0, off, off offset:80
	s_nop 0
	scratch_store_dwordx4 off, v[38:41], off
	scratch_store_dwordx4 off, v[38:41], off offset:16
	scratch_store_dwordx4 off, v[38:41], off offset:32
	;; [unrolled: 1-line block ×3, first 2 shown]
	scratch_load_dword v4, off, off offset:112
	s_waitcnt vmcnt(0)
	v_and_b32_sdwa v116, v104, s37 dst_sel:DWORD dst_unused:UNUSED_PAD src0_sel:WORD_1 src1_sel:DWORD
	v_and_b32_sdwa v117, v105, s38 dst_sel:DWORD dst_unused:UNUSED_PAD src0_sel:WORD_1 src1_sel:DWORD
	v_lshlrev_b16_sdwa v118, v47, v105 dst_sel:DWORD dst_unused:UNUSED_PAD src0_sel:DWORD src1_sel:WORD_1
	v_and_b32_e32 v119, 0xffffff00, v105
	v_and_b32_sdwa v120, v108, s37 dst_sel:DWORD dst_unused:UNUSED_PAD src0_sel:WORD_1 src1_sel:DWORD
	v_and_b32_sdwa v121, v106, s38 dst_sel:DWORD dst_unused:UNUSED_PAD src0_sel:WORD_1 src1_sel:DWORD
	v_lshlrev_b16_sdwa v122, v47, v106 dst_sel:DWORD dst_unused:UNUSED_PAD src0_sel:DWORD src1_sel:WORD_1
	v_and_b32_e32 v123, 0xffffff00, v106
	v_and_b32_sdwa v124, v107, s38 dst_sel:DWORD dst_unused:UNUSED_PAD src0_sel:WORD_1 src1_sel:DWORD
	v_lshlrev_b16_sdwa v125, v47, v107 dst_sel:DWORD dst_unused:UNUSED_PAD src0_sel:DWORD src1_sel:WORD_1
	v_and_b32_sdwa v126, v109, s37 dst_sel:DWORD dst_unused:UNUSED_PAD src0_sel:WORD_1 src1_sel:DWORD
	v_and_b32_e32 v127, 0xffffff00, v107
	v_and_b32_sdwa v128, v110, s38 dst_sel:DWORD dst_unused:UNUSED_PAD src0_sel:WORD_1 src1_sel:DWORD
	v_lshlrev_b16_sdwa v129, v47, v110 dst_sel:DWORD dst_unused:UNUSED_PAD src0_sel:DWORD src1_sel:WORD_1
	v_and_b32_sdwa v130, v111, s37 dst_sel:DWORD dst_unused:UNUSED_PAD src0_sel:WORD_1 src1_sel:DWORD
	v_and_b32_e32 v131, 0xffffff00, v110
	v_and_b32_sdwa v132, v84, s37 dst_sel:DWORD dst_unused:UNUSED_PAD src0_sel:WORD_1 src1_sel:DWORD
	v_and_b32_e32 v133, 0xffffff00, v112
	v_and_b32_sdwa v134, v85, s37 dst_sel:DWORD dst_unused:UNUSED_PAD src0_sel:WORD_1 src1_sel:DWORD
	v_and_b32_sdwa v135, v113, s38 dst_sel:DWORD dst_unused:UNUSED_PAD src0_sel:WORD_1 src1_sel:DWORD
	v_lshlrev_b16_sdwa v136, v47, v113 dst_sel:DWORD dst_unused:UNUSED_PAD src0_sel:DWORD src1_sel:WORD_1
	v_and_b32_e32 v137, 0xffffff00, v113
	v_and_b32_sdwa v138, v114, s38 dst_sel:DWORD dst_unused:UNUSED_PAD src0_sel:WORD_1 src1_sel:DWORD
	v_lshlrev_b16_sdwa v139, v47, v114 dst_sel:DWORD dst_unused:UNUSED_PAD src0_sel:DWORD src1_sel:WORD_1
	v_and_b32_sdwa v140, v86, s37 dst_sel:DWORD dst_unused:UNUSED_PAD src0_sel:WORD_1 src1_sel:DWORD
	v_and_b32_e32 v141, 0xffffff00, v114
	v_and_b32_sdwa v142, v115, s38 dst_sel:DWORD dst_unused:UNUSED_PAD src0_sel:WORD_1 src1_sel:DWORD
	v_lshlrev_b16_sdwa v143, v47, v115 dst_sel:DWORD dst_unused:UNUSED_PAD src0_sel:DWORD src1_sel:WORD_1
	v_and_b32_e32 v145, 0xffffff00, v115
	v_or_b32_sdwa v117, v104, v117 dst_sel:DWORD dst_unused:UNUSED_PAD src0_sel:BYTE_3 src1_sel:DWORD
	v_and_b32_sdwa v144, v87, s37 dst_sel:DWORD dst_unused:UNUSED_PAD src0_sel:WORD_1 src1_sel:DWORD
	v_or_b32_e32 v116, v116, v118
	v_or_b32_sdwa v118, v104, v119 dst_sel:DWORD dst_unused:UNUSED_PAD src0_sel:BYTE_1 src1_sel:DWORD
	v_ashrrev_i32_e32 v1, 31, v0
	v_lshl_add_u64 v[32:33], v[32:33], 0, v[0:1]
	flat_load_dwordx4 v[0:3], v[32:33]
	v_ashrrev_i32_e32 v5, 31, v4
	v_lshl_add_u64 v[8:9], v[8:9], 0, v[4:5]
	v_or_b32_sdwa v119, v108, v121 dst_sel:WORD_1 dst_unused:UNUSED_PAD src0_sel:BYTE_3 src1_sel:DWORD
	v_or_b32_sdwa v120, v120, v122 dst_sel:WORD_1 dst_unused:UNUSED_PAD src0_sel:DWORD src1_sel:DWORD
	v_or_b32_sdwa v121, v108, v123 dst_sel:WORD_1 dst_unused:UNUSED_PAD src0_sel:BYTE_1 src1_sel:DWORD
	v_or_b32_sdwa v122, v109, v124 dst_sel:WORD_1 dst_unused:UNUSED_PAD src0_sel:BYTE_3 src1_sel:DWORD
	v_or_b32_sdwa v123, v126, v125 dst_sel:WORD_1 dst_unused:UNUSED_PAD src0_sel:DWORD src1_sel:DWORD
	v_or_b32_sdwa v124, v109, v127 dst_sel:WORD_1 dst_unused:UNUSED_PAD src0_sel:BYTE_1 src1_sel:DWORD
	v_or_b32_sdwa v125, v111, v128 dst_sel:DWORD dst_unused:UNUSED_PAD src0_sel:BYTE_3 src1_sel:DWORD
	v_or_b32_e32 v126, v130, v129
	v_or_b32_sdwa v127, v111, v131 dst_sel:DWORD dst_unused:UNUSED_PAD src0_sel:BYTE_1 src1_sel:DWORD
	v_or_b32_sdwa v130, v84, v133 dst_sel:DWORD dst_unused:UNUSED_PAD src0_sel:BYTE_1 src1_sel:DWORD
	v_or_b32_sdwa v131, v85, v135 dst_sel:WORD_1 dst_unused:UNUSED_PAD src0_sel:BYTE_3 src1_sel:DWORD
	v_or_b32_sdwa v133, v85, v137 dst_sel:WORD_1 dst_unused:UNUSED_PAD src0_sel:BYTE_1 src1_sel:DWORD
	v_or_b32_sdwa v135, v140, v139 dst_sel:WORD_1 dst_unused:UNUSED_PAD src0_sel:DWORD src1_sel:DWORD
	v_or_b32_sdwa v137, v87, v142 dst_sel:DWORD dst_unused:UNUSED_PAD src0_sel:BYTE_3 src1_sel:DWORD
	v_or_b32_sdwa v139, v87, v145 dst_sel:DWORD dst_unused:UNUSED_PAD src0_sel:BYTE_1 src1_sel:DWORD
	s_waitcnt vmcnt(0) lgkmcnt(0)
	scratch_store_dwordx4 off, v[0:3], off
	flat_load_dwordx4 v[4:7], v[8:9]
	s_waitcnt vmcnt(0) lgkmcnt(0)
	scratch_store_dwordx4 off, v[4:7], off offset:32
	flat_load_dwordx4 v[8:11], v[8:9] offset:256
	s_nop 0
	scratch_load_dwordx4 v[12:15], off, off offset:144
	scratch_load_dwordx4 v[16:19], off, off offset:176
	;; [unrolled: 1-line block ×8, first 2 shown]
	s_waitcnt vmcnt(0)
	v_dot4c_i32_i8_e32 v12, v0, v4
	s_waitcnt lgkmcnt(0)
	scratch_store_dwordx4 off, v[8:11], off offset:48
	flat_load_dwordx4 v[100:103], v[32:33] offset:256
	v_and_b32_sdwa v32, v112, s38 dst_sel:DWORD dst_unused:UNUSED_PAD src0_sel:WORD_1 src1_sel:DWORD
	v_lshlrev_b16_sdwa v33, v47, v112 dst_sel:DWORD dst_unused:UNUSED_PAD src0_sel:DWORD src1_sel:WORD_1
	v_dot4c_i32_i8_e32 v13, v0, v5
	v_dot4c_i32_i8_e32 v14, v0, v6
	;; [unrolled: 1-line block ×31, first 2 shown]
	v_mov_b32_e32 v0, s22
	v_mov_b32_e32 v1, s3
	;; [unrolled: 1-line block ×12, first 2 shown]
	v_or_b32_sdwa v128, v84, v32 dst_sel:DWORD dst_unused:UNUSED_PAD src0_sel:BYTE_3 src1_sel:DWORD
	v_or_b32_e32 v129, v132, v33
	v_or_b32_sdwa v132, v134, v136 dst_sel:WORD_1 dst_unused:UNUSED_PAD src0_sel:DWORD src1_sel:DWORD
	v_or_b32_sdwa v134, v86, v138 dst_sel:WORD_1 dst_unused:UNUSED_PAD src0_sel:BYTE_3 src1_sel:DWORD
	v_or_b32_sdwa v136, v86, v141 dst_sel:WORD_1 dst_unused:UNUSED_PAD src0_sel:BYTE_1 src1_sel:DWORD
	v_or_b32_e32 v138, v144, v143
	scratch_store_dwordx4 off, v[12:15], off offset:144
	scratch_store_dwordx4 off, v[16:19], off offset:176
	;; [unrolled: 1-line block ×8, first 2 shown]
	s_waitcnt vmcnt(0) lgkmcnt(0)
	scratch_store_dwordx4 off, v[100:103], off offset:16
	s_swappc_b64 s[30:31], s[18:19]
	scratch_load_dword v140, off, off offset:16
	scratch_load_dword v141, off, off offset:32
	scratch_load_dwordx4 v[2:5], off, off offset:272
	scratch_load_dwordx4 v[6:9], off, off offset:32
	scratch_load_dwordx4 v[10:13], off, off offset:16
	scratch_load_dwordx4 v[14:17], off, off offset:304
	scratch_load_dwordx4 v[18:21], off, off offset:336
	scratch_load_dwordx4 v[22:25], off, off offset:368
	scratch_load_dword v6, off, off offset:48
	scratch_load_dwordx4 v[26:29], off, off offset:288
	scratch_load_dwordx4 v[30:33], off, off offset:48
	;; [unrolled: 1-line block ×5, first 2 shown]
	scratch_load_dwordx2 v[0:1], off, off offset:400
	s_waitcnt vmcnt(10)
	v_lshlrev_b16_e32 v10, 8, v105
	s_waitcnt vmcnt(4)
	v_lshlrev_b16_e32 v30, 8, v106
	v_lshlrev_b16_e32 v100, 8, v110
	;; [unrolled: 1-line block ×3, first 2 shown]
	v_or_b32_sdwa v10, v104, v10 dst_sel:DWORD dst_unused:UNUSED_PAD src0_sel:BYTE_0 src1_sel:DWORD
	v_or_b32_sdwa v30, v108, v30 dst_sel:WORD_1 dst_unused:UNUSED_PAD src0_sel:BYTE_0 src1_sel:DWORD
	v_or_b32_sdwa v104, v111, v100 dst_sel:DWORD dst_unused:UNUSED_PAD src0_sel:BYTE_0 src1_sel:DWORD
	v_or_b32_sdwa v108, v109, v110 dst_sel:WORD_1 dst_unused:UNUSED_PAD src0_sel:BYTE_0 src1_sel:DWORD
	v_or_b32_sdwa v101, v118, v121 dst_sel:DWORD dst_unused:UNUSED_PAD src0_sel:WORD_0 src1_sel:DWORD
	v_or_b32_sdwa v102, v116, v120 dst_sel:DWORD dst_unused:UNUSED_PAD src0_sel:WORD_0 src1_sel:DWORD
	;; [unrolled: 1-line block ×8, first 2 shown]
	s_add_i32 s16, s16, 32
	v_add_u32_e32 v34, s44, v34
	v_add_u32_e32 v36, s44, v36
	;; [unrolled: 1-line block ×39, first 2 shown]
	s_cmp_lt_i32 s16, s43
	v_add_u32_e32 v83, s45, v83
	v_or_b32_sdwa v10, v138, v135 dst_sel:DWORD dst_unused:UNUSED_PAD src0_sel:WORD_0 src1_sel:DWORD
	v_dot4c_i32_i8_e32 v2, v140, v141
	v_dot4c_i32_i8_e32 v3, v140, v7
	;; [unrolled: 1-line block ×20, first 2 shown]
	s_waitcnt vmcnt(3)
	v_dot4c_i32_i8_e32 v88, v11, v6
	v_dot4c_i32_i8_e32 v89, v11, v31
	v_dot4c_i32_i8_e32 v90, v11, v32
	v_dot4c_i32_i8_e32 v91, v11, v33
	s_waitcnt vmcnt(2)
	v_dot4c_i32_i8_e32 v92, v12, v6
	v_dot4c_i32_i8_e32 v93, v12, v31
	v_dot4c_i32_i8_e32 v94, v12, v32
	v_dot4c_i32_i8_e32 v95, v12, v33
	;; [unrolled: 5-line block ×3, first 2 shown]
	s_waitcnt vmcnt(0)
	v_lshl_add_u64 v[6:7], v[0:1], 0, v[42:43]
	scratch_store_dwordx4 off, v[2:5], off offset:272
	scratch_store_dwordx4 off, v[14:17], off offset:304
	;; [unrolled: 1-line block ×8, first 2 shown]
	flat_store_dwordx4 v[6:7], v[100:103]
	flat_store_dwordx4 v[6:7], v[104:107] offset:512
	scratch_load_dwordx2 v[2:3], off, off offset:416
	v_lshlrev_b16_e32 v4, 8, v112
	v_lshlrev_b16_e32 v8, 8, v113
	;; [unrolled: 1-line block ×4, first 2 shown]
	v_or_b32_sdwa v4, v84, v4 dst_sel:DWORD dst_unused:UNUSED_PAD src0_sel:BYTE_0 src1_sel:DWORD
	v_or_b32_sdwa v8, v85, v8 dst_sel:WORD_1 dst_unused:UNUSED_PAD src0_sel:BYTE_0 src1_sel:DWORD
	v_or_b32_sdwa v12, v87, v12 dst_sel:DWORD dst_unused:UNUSED_PAD src0_sel:BYTE_0 src1_sel:DWORD
	v_or_b32_sdwa v13, v86, v13 dst_sel:WORD_1 dst_unused:UNUSED_PAD src0_sel:BYTE_0 src1_sel:DWORD
	v_or_b32_sdwa v5, v130, v133 dst_sel:DWORD dst_unused:UNUSED_PAD src0_sel:WORD_0 src1_sel:DWORD
	v_or_b32_sdwa v6, v129, v132 dst_sel:DWORD dst_unused:UNUSED_PAD src0_sel:WORD_0 src1_sel:DWORD
	;; [unrolled: 1-line block ×7, first 2 shown]
	s_waitcnt vmcnt(0)
	v_lshl_add_u64 v[12:13], v[2:3], 0, v[42:43]
	flat_store_dwordx4 v[12:13], v[4:7]
	flat_store_dwordx4 v[12:13], v[8:11] offset:512
	s_cbranch_scc1 .LBB2_1
; %bb.2:
	s_waitcnt lgkmcnt(0)
	s_barrier
	scratch_load_dword v4, off, off offset:80
	scratch_load_dword v8, off, off offset:112
	s_mov_b32 s40, 0
	s_mov_b32 s41, s40
	;; [unrolled: 1-line block ×4, first 2 shown]
	v_mov_b64_e32 v[38:39], s[40:41]
	v_mov_b64_e32 v[40:41], s[42:43]
	scratch_store_dwordx4 off, v[38:41], off
	scratch_store_dwordx4 off, v[38:41], off offset:16
	scratch_store_dwordx4 off, v[38:41], off offset:32
	scratch_store_dwordx4 off, v[38:41], off offset:48
	s_mul_i32 s0, s29, 60
	v_add3_u32 v10, v44, v51, s0
	s_mul_i32 s16, s33, 60
	v_add3_u32 v11, v44, v50, s0
	v_add3_u32 v12, v44, v48, s0
	v_add3_u32 v13, v44, v34, s16
	v_mov_b32_e32 v74, 8
	s_waitcnt vmcnt(0)
	v_ashrrev_i32_e32 v5, 31, v4
	v_lshl_add_u64 v[32:33], v[0:1], 0, v[4:5]
	flat_load_dwordx4 v[4:7], v[32:33]
	v_ashrrev_i32_e32 v9, 31, v8
	v_lshl_add_u64 v[8:9], v[2:3], 0, v[8:9]
	s_waitcnt vmcnt(0) lgkmcnt(0)
	scratch_store_dwordx4 off, v[4:7], off
	flat_load_dwordx4 v[0:3], v[8:9]
	buffer_load_dword v60, v10, s[8:11], 0 offen
	buffer_load_dword v61, v11, s[8:11], 0 offen
	v_add3_u32 v10, v44, v49, s0
	buffer_load_dword v64, v10, s[8:11], 0 offen
	buffer_load_dword v62, v12, s[8:11], 0 offen
	v_add3_u32 v10, v44, v46, s16
	v_add3_u32 v11, v44, v45, s16
	buffer_load_dword v65, v10, s[12:15], 0 offen
	buffer_load_dword v66, v11, s[12:15], 0 offen
	v_add3_u32 v10, v44, v36, s16
	buffer_load_dword v34, v10, s[12:15], 0 offen
	buffer_load_dword v36, v13, s[12:15], 0 offen
	v_add_u32_e32 v12, s35, v12
	v_add_u32_e32 v13, s36, v13
	s_movk_i32 s0, 0xff
	s_waitcnt vmcnt(0)
	v_and_b32_sdwa v75, v60, s0 dst_sel:DWORD dst_unused:UNUSED_PAD src0_sel:WORD_1 src1_sel:DWORD
	s_waitcnt lgkmcnt(0)
	scratch_store_dwordx4 off, v[0:3], off offset:32
	flat_load_dwordx4 v[8:11], v[8:9] offset:256
	v_lshlrev_b16_sdwa v76, v74, v61 dst_sel:DWORD dst_unused:UNUSED_PAD src0_sel:DWORD src1_sel:WORD_1
	buffer_load_dword v63, v12, s[8:11], 0 offen
	v_subrev_u32_e32 v12, s29, v12
	buffer_load_dword v67, v13, s[12:15], 0 offen
	buffer_load_dword v68, v12, s[8:11], 0 offen
	v_subrev_u32_e32 v13, s33, v13
	v_subrev_u32_e32 v12, s29, v12
	buffer_load_dword v69, v13, s[12:15], 0 offen
	buffer_load_dword v70, v12, s[8:11], 0 offen
	v_subrev_u32_e32 v13, s33, v13
	v_subrev_u32_e32 v12, s29, v12
	buffer_load_dword v72, v12, s[8:11], 0 offen
	v_subrev_u32_e32 v12, s33, v13
	buffer_load_dword v71, v13, s[12:15], 0 offen
	buffer_load_dword v73, v12, s[12:15], 0 offen
	s_nop 0
	scratch_load_dwordx4 v[12:15], off, off offset:144
	scratch_load_dwordx4 v[16:19], off, off offset:176
	;; [unrolled: 1-line block ×8, first 2 shown]
	s_movk_i32 s10, 0xff00
	v_and_b32_sdwa v56, v61, s10 dst_sel:DWORD dst_unused:UNUSED_PAD src0_sel:WORD_1 src1_sel:DWORD
	v_or_b32_sdwa v90, v60, v56 dst_sel:DWORD dst_unused:UNUSED_PAD src0_sel:BYTE_3 src1_sel:DWORD
	v_and_b32_e32 v77, 0xffffff00, v61
	v_and_b32_sdwa v79, v62, s10 dst_sel:DWORD dst_unused:UNUSED_PAD src0_sel:WORD_1 src1_sel:DWORD
	v_and_b32_e32 v81, 0xffffff00, v62
	v_and_b32_sdwa v83, v66, s10 dst_sel:DWORD dst_unused:UNUSED_PAD src0_sel:WORD_1 src1_sel:DWORD
	;; [unrolled: 2-line block ×3, first 2 shown]
	v_lshlrev_b16_sdwa v88, v74, v36 dst_sel:DWORD dst_unused:UNUSED_PAD src0_sel:DWORD src1_sel:WORD_1
	s_mov_b64 s[8:9], src_private_base
	v_and_b32_sdwa v78, v64, s0 dst_sel:DWORD dst_unused:UNUSED_PAD src0_sel:WORD_1 src1_sel:DWORD
	v_lshlrev_b16_sdwa v80, v74, v62 dst_sel:DWORD dst_unused:UNUSED_PAD src0_sel:DWORD src1_sel:WORD_1
	v_and_b32_sdwa v82, v65, s0 dst_sel:DWORD dst_unused:UNUSED_PAD src0_sel:WORD_1 src1_sel:DWORD
	v_lshlrev_b16_sdwa v84, v74, v66 dst_sel:DWORD dst_unused:UNUSED_PAD src0_sel:DWORD src1_sel:WORD_1
	v_and_b32_sdwa v87, v36, s10 dst_sel:DWORD dst_unused:UNUSED_PAD src0_sel:WORD_1 src1_sel:DWORD
	v_and_b32_e32 v89, 0xffffff00, v36
	v_or_b32_e32 v75, v75, v76
	v_or_b32_sdwa v76, v60, v77 dst_sel:DWORD dst_unused:UNUSED_PAD src0_sel:BYTE_1 src1_sel:DWORD
	v_or_b32_sdwa v77, v64, v79 dst_sel:WORD_1 dst_unused:UNUSED_PAD src0_sel:BYTE_3 src1_sel:DWORD
	v_or_b32_sdwa v79, v64, v81 dst_sel:WORD_1 dst_unused:UNUSED_PAD src0_sel:BYTE_1 src1_sel:DWORD
	v_or_b32_sdwa v81, v65, v83 dst_sel:DWORD dst_unused:UNUSED_PAD src0_sel:BYTE_3 src1_sel:DWORD
	v_or_b32_sdwa v83, v65, v85 dst_sel:DWORD dst_unused:UNUSED_PAD src0_sel:BYTE_1 src1_sel:DWORD
	v_or_b32_sdwa v85, v86, v88 dst_sel:WORD_1 dst_unused:UNUSED_PAD src0_sel:DWORD src1_sel:DWORD
	v_or_b32_sdwa v78, v78, v80 dst_sel:WORD_1 dst_unused:UNUSED_PAD src0_sel:DWORD src1_sel:DWORD
	v_or_b32_e32 v82, v82, v84
	v_or_b32_sdwa v84, v34, v87 dst_sel:WORD_1 dst_unused:UNUSED_PAD src0_sel:BYTE_3 src1_sel:DWORD
	v_or_b32_sdwa v86, v34, v89 dst_sel:WORD_1 dst_unused:UNUSED_PAD src0_sel:BYTE_1 src1_sel:DWORD
	s_waitcnt vmcnt(0) lgkmcnt(0)
	scratch_store_dwordx4 off, v[8:11], off offset:48
	flat_load_dwordx4 v[56:59], v[32:33] offset:256
	v_and_b32_sdwa v32, v63, s10 dst_sel:DWORD dst_unused:UNUSED_PAD src0_sel:WORD_1 src1_sel:DWORD
	v_lshlrev_b16_sdwa v33, v74, v63 dst_sel:DWORD dst_unused:UNUSED_PAD src0_sel:DWORD src1_sel:WORD_1
	v_lshlrev_b16_sdwa v88, v74, v67 dst_sel:DWORD dst_unused:UNUSED_PAD src0_sel:DWORD src1_sel:WORD_1
	v_or_b32_sdwa v91, v68, v32 dst_sel:WORD_1 dst_unused:UNUSED_PAD src0_sel:BYTE_3 src1_sel:DWORD
	v_and_b32_sdwa v32, v68, s0 dst_sel:DWORD dst_unused:UNUSED_PAD src0_sel:WORD_1 src1_sel:DWORD
	v_or_b32_sdwa v93, v32, v33 dst_sel:WORD_1 dst_unused:UNUSED_PAD src0_sel:DWORD src1_sel:DWORD
	v_and_b32_sdwa v92, v69, s0 dst_sel:DWORD dst_unused:UNUSED_PAD src0_sel:WORD_1 src1_sel:DWORD
	v_and_b32_sdwa v32, v70, s10 dst_sel:DWORD dst_unused:UNUSED_PAD src0_sel:WORD_1 src1_sel:DWORD
	v_and_b32_e32 v80, 0xffffff00, v63
	v_and_b32_sdwa v87, v67, s10 dst_sel:DWORD dst_unused:UNUSED_PAD src0_sel:WORD_1 src1_sel:DWORD
	v_and_b32_e32 v89, 0xffffff00, v67
	v_lshlrev_b16_sdwa v33, v74, v70 dst_sel:DWORD dst_unused:UNUSED_PAD src0_sel:DWORD src1_sel:WORD_1
	v_and_b32_e32 v94, 0xffffff00, v70
	v_or_b32_sdwa v88, v92, v88 dst_sel:WORD_1 dst_unused:UNUSED_PAD src0_sel:DWORD src1_sel:DWORD
	v_and_b32_sdwa v92, v71, s10 dst_sel:DWORD dst_unused:UNUSED_PAD src0_sel:WORD_1 src1_sel:DWORD
	v_lshlrev_b16_sdwa v74, v74, v71 dst_sel:DWORD dst_unused:UNUSED_PAD src0_sel:DWORD src1_sel:WORD_1
	v_and_b32_e32 v95, 0xffffff00, v71
	v_or_b32_sdwa v96, v72, v32 dst_sel:DWORD dst_unused:UNUSED_PAD src0_sel:BYTE_3 src1_sel:DWORD
	v_and_b32_sdwa v32, v72, s0 dst_sel:DWORD dst_unused:UNUSED_PAD src0_sel:WORD_1 src1_sel:DWORD
	v_and_b32_sdwa v97, v73, s0 dst_sel:DWORD dst_unused:UNUSED_PAD src0_sel:WORD_1 src1_sel:DWORD
	v_dot4c_i32_i8_e32 v12, v4, v0
	v_dot4c_i32_i8_e32 v13, v4, v1
	;; [unrolled: 1-line block ×32, first 2 shown]
	v_mov_b32_e32 v0, s22
	v_mov_b32_e32 v1, s3
	v_mov_b32_e32 v2, s27
	v_mov_b32_e32 v3, s34
	v_mov_b32_e32 v4, 0
	v_mov_b32_e32 v6, 32
	v_mov_b32_e32 v8, s2
	v_mov_b32_e32 v9, s7
	v_mov_b32_e32 v10, s26
	v_mov_b32_e32 v5, s9
	v_mov_b32_e32 v7, s9
	v_mov_b32_e32 v11, s25
	v_or_b32_sdwa v80, v68, v80 dst_sel:WORD_1 dst_unused:UNUSED_PAD src0_sel:BYTE_1 src1_sel:DWORD
	v_or_b32_sdwa v87, v69, v87 dst_sel:WORD_1 dst_unused:UNUSED_PAD src0_sel:BYTE_3 src1_sel:DWORD
	v_or_b32_sdwa v89, v69, v89 dst_sel:WORD_1 dst_unused:UNUSED_PAD src0_sel:BYTE_1 src1_sel:DWORD
	v_or_b32_sdwa v94, v72, v94 dst_sel:DWORD dst_unused:UNUSED_PAD src0_sel:BYTE_1 src1_sel:DWORD
	v_or_b32_sdwa v92, v73, v92 dst_sel:DWORD dst_unused:UNUSED_PAD src0_sel:BYTE_3 src1_sel:DWORD
	v_or_b32_sdwa v95, v73, v95 dst_sel:DWORD dst_unused:UNUSED_PAD src0_sel:BYTE_1 src1_sel:DWORD
	v_or_b32_e32 v98, v32, v33
	v_or_b32_e32 v74, v97, v74
	scratch_store_dwordx4 off, v[12:15], off offset:144
	scratch_store_dwordx4 off, v[16:19], off offset:176
	;; [unrolled: 1-line block ×8, first 2 shown]
	s_waitcnt vmcnt(0) lgkmcnt(0)
	scratch_store_dwordx4 off, v[56:59], off offset:16
	s_swappc_b64 s[30:31], s[18:19]
	scratch_load_dword v97, off, off offset:16
	scratch_load_dword v99, off, off offset:32
	scratch_load_dwordx4 v[0:3], off, off offset:272
	scratch_load_dwordx4 v[4:7], off, off offset:32
	;; [unrolled: 1-line block ×6, first 2 shown]
	scratch_load_dword v4, off, off offset:48
	scratch_load_dwordx4 v[24:27], off, off offset:288
	scratch_load_dwordx4 v[28:31], off, off offset:48
	scratch_load_dwordx4 v[44:47], off, off offset:320
	scratch_load_dwordx4 v[48:51], off, off offset:352
	scratch_load_dwordx4 v[52:55], off, off offset:384
	scratch_load_dwordx2 v[32:33], off, off offset:432
	s_waitcnt vmcnt(10)
	v_lshlrev_b16_e32 v8, 8, v61
	s_waitcnt vmcnt(4)
	v_lshlrev_b16_e32 v28, 8, v62
	v_lshlrev_b16_e32 v56, 8, v70
	;; [unrolled: 1-line block ×3, first 2 shown]
	v_or_b32_sdwa v8, v60, v8 dst_sel:DWORD dst_unused:UNUSED_PAD src0_sel:BYTE_0 src1_sel:DWORD
	v_or_b32_sdwa v28, v64, v28 dst_sel:WORD_1 dst_unused:UNUSED_PAD src0_sel:BYTE_0 src1_sel:DWORD
	v_or_b32_sdwa v60, v72, v56 dst_sel:DWORD dst_unused:UNUSED_PAD src0_sel:BYTE_0 src1_sel:DWORD
	v_or_b32_sdwa v64, v68, v70 dst_sel:WORD_1 dst_unused:UNUSED_PAD src0_sel:BYTE_0 src1_sel:DWORD
	v_or_b32_sdwa v57, v76, v79 dst_sel:DWORD dst_unused:UNUSED_PAD src0_sel:WORD_0 src1_sel:DWORD
	v_or_b32_sdwa v58, v75, v78 dst_sel:DWORD dst_unused:UNUSED_PAD src0_sel:WORD_0 src1_sel:DWORD
	;; [unrolled: 1-line block ×8, first 2 shown]
	v_dot4c_i32_i8_e32 v0, v97, v99
	v_dot4c_i32_i8_e32 v1, v97, v5
	v_dot4c_i32_i8_e32 v2, v97, v6
	v_dot4c_i32_i8_e32 v3, v97, v7
	v_dot4c_i32_i8_e32 v12, v9, v99
	v_dot4c_i32_i8_e32 v13, v9, v5
	v_dot4c_i32_i8_e32 v14, v9, v6
	v_dot4c_i32_i8_e32 v15, v9, v7
	v_dot4c_i32_i8_e32 v16, v10, v99
	v_dot4c_i32_i8_e32 v17, v10, v5
	v_dot4c_i32_i8_e32 v18, v10, v6
	v_dot4c_i32_i8_e32 v19, v10, v7
	v_dot4c_i32_i8_e32 v20, v11, v99
	v_dot4c_i32_i8_e32 v21, v11, v5
	v_dot4c_i32_i8_e32 v22, v11, v6
	v_dot4c_i32_i8_e32 v23, v11, v7
	v_dot4c_i32_i8_e32 v24, v97, v4
	v_dot4c_i32_i8_e32 v25, v97, v29
	v_dot4c_i32_i8_e32 v26, v97, v30
	v_dot4c_i32_i8_e32 v27, v97, v31
	s_waitcnt vmcnt(3)
	v_dot4c_i32_i8_e32 v44, v9, v4
	v_dot4c_i32_i8_e32 v45, v9, v29
	v_dot4c_i32_i8_e32 v46, v9, v30
	v_dot4c_i32_i8_e32 v47, v9, v31
	s_waitcnt vmcnt(2)
	v_dot4c_i32_i8_e32 v48, v10, v4
	v_dot4c_i32_i8_e32 v49, v10, v29
	v_dot4c_i32_i8_e32 v50, v10, v30
	v_dot4c_i32_i8_e32 v51, v10, v31
	;; [unrolled: 5-line block ×3, first 2 shown]
	s_waitcnt vmcnt(0)
	v_lshl_add_u64 v[4:5], v[32:33], 0, v[42:43]
	scratch_store_dwordx4 off, v[0:3], off offset:272
	scratch_store_dwordx4 off, v[12:15], off offset:304
	;; [unrolled: 1-line block ×8, first 2 shown]
	flat_store_dwordx4 v[4:5], v[56:59]
	flat_store_dwordx4 v[4:5], v[60:63] offset:512
	scratch_load_dwordx2 v[8:9], off, off offset:448
	v_lshlrev_b16_e32 v0, 8, v66
	v_lshlrev_b16_e32 v4, 8, v36
	;; [unrolled: 1-line block ×4, first 2 shown]
	v_or_b32_sdwa v0, v65, v0 dst_sel:DWORD dst_unused:UNUSED_PAD src0_sel:BYTE_0 src1_sel:DWORD
	v_or_b32_sdwa v4, v34, v4 dst_sel:WORD_1 dst_unused:UNUSED_PAD src0_sel:BYTE_0 src1_sel:DWORD
	v_or_b32_sdwa v10, v73, v10 dst_sel:DWORD dst_unused:UNUSED_PAD src0_sel:BYTE_0 src1_sel:DWORD
	v_or_b32_sdwa v11, v69, v11 dst_sel:WORD_1 dst_unused:UNUSED_PAD src0_sel:BYTE_0 src1_sel:DWORD
	v_or_b32_sdwa v1, v83, v86 dst_sel:DWORD dst_unused:UNUSED_PAD src0_sel:WORD_0 src1_sel:DWORD
	v_or_b32_sdwa v2, v82, v85 dst_sel:DWORD dst_unused:UNUSED_PAD src0_sel:WORD_0 src1_sel:DWORD
	;; [unrolled: 1-line block ×8, first 2 shown]
	s_waitcnt vmcnt(0)
	v_lshl_add_u64 v[10:11], v[8:9], 0, v[42:43]
	flat_store_dwordx4 v[10:11], v[0:3]
	flat_store_dwordx4 v[10:11], v[4:7] offset:512
	s_waitcnt lgkmcnt(0)
	s_barrier
	scratch_load_dword v0, off, off offset:80
	s_nop 0
	scratch_store_dwordx4 off, v[38:41], off
	scratch_store_dwordx4 off, v[38:41], off offset:16
	scratch_store_dwordx4 off, v[38:41], off offset:32
	;; [unrolled: 1-line block ×3, first 2 shown]
	scratch_load_dword v4, off, off offset:112
	s_waitcnt vmcnt(0)
	v_ashrrev_i32_e32 v1, 31, v0
	v_lshl_add_u64 v[32:33], v[32:33], 0, v[0:1]
	flat_load_dwordx4 v[0:3], v[32:33]
	v_ashrrev_i32_e32 v5, 31, v4
	v_lshl_add_u64 v[8:9], v[8:9], 0, v[4:5]
	s_waitcnt vmcnt(0) lgkmcnt(0)
	scratch_store_dwordx4 off, v[0:3], off
	flat_load_dwordx4 v[4:7], v[8:9]
	s_waitcnt vmcnt(0) lgkmcnt(0)
	scratch_store_dwordx4 off, v[4:7], off offset:32
	flat_load_dwordx4 v[8:11], v[8:9] offset:256
	s_nop 0
	scratch_load_dwordx4 v[12:15], off, off offset:144
	scratch_load_dwordx4 v[16:19], off, off offset:176
	scratch_load_dwordx4 v[20:23], off, off offset:208
	scratch_load_dwordx4 v[24:27], off, off offset:240
	scratch_load_dwordx4 v[28:31], off, off offset:160
	scratch_load_dwordx4 v[38:41], off, off offset:192
	scratch_load_dwordx4 v[42:45], off, off offset:224
	scratch_load_dwordx4 v[46:49], off, off offset:256
	s_waitcnt vmcnt(0)
	v_dot4c_i32_i8_e32 v12, v0, v4
	s_waitcnt lgkmcnt(0)
	scratch_store_dwordx4 off, v[8:11], off offset:48
	flat_load_dwordx4 v[50:53], v[32:33] offset:256
	v_dot4c_i32_i8_e32 v13, v0, v5
	v_dot4c_i32_i8_e32 v14, v0, v6
	v_dot4c_i32_i8_e32 v15, v0, v7
	v_dot4c_i32_i8_e32 v16, v1, v4
	v_dot4c_i32_i8_e32 v17, v1, v5
	v_dot4c_i32_i8_e32 v18, v1, v6
	v_dot4c_i32_i8_e32 v19, v1, v7
	v_dot4c_i32_i8_e32 v20, v2, v4
	v_dot4c_i32_i8_e32 v21, v2, v5
	v_dot4c_i32_i8_e32 v22, v2, v6
	v_dot4c_i32_i8_e32 v23, v2, v7
	v_dot4c_i32_i8_e32 v24, v3, v4
	v_dot4c_i32_i8_e32 v25, v3, v5
	v_dot4c_i32_i8_e32 v26, v3, v6
	v_dot4c_i32_i8_e32 v27, v3, v7
	v_dot4c_i32_i8_e32 v28, v0, v8
	v_dot4c_i32_i8_e32 v29, v0, v9
	v_dot4c_i32_i8_e32 v30, v0, v10
	v_dot4c_i32_i8_e32 v31, v0, v11
	v_dot4c_i32_i8_e32 v38, v1, v8
	v_dot4c_i32_i8_e32 v39, v1, v9
	v_dot4c_i32_i8_e32 v40, v1, v10
	v_dot4c_i32_i8_e32 v41, v1, v11
	v_dot4c_i32_i8_e32 v42, v2, v8
	v_dot4c_i32_i8_e32 v43, v2, v9
	v_dot4c_i32_i8_e32 v44, v2, v10
	v_dot4c_i32_i8_e32 v45, v2, v11
	v_dot4c_i32_i8_e32 v46, v3, v8
	v_dot4c_i32_i8_e32 v47, v3, v9
	v_dot4c_i32_i8_e32 v48, v3, v10
	v_dot4c_i32_i8_e32 v49, v3, v11
	v_mov_b32_e32 v0, s22
	v_mov_b32_e32 v1, s3
	;; [unrolled: 1-line block ×12, first 2 shown]
	scratch_store_dwordx4 off, v[12:15], off offset:144
	scratch_store_dwordx4 off, v[16:19], off offset:176
	;; [unrolled: 1-line block ×8, first 2 shown]
	s_waitcnt vmcnt(0) lgkmcnt(0)
	scratch_store_dwordx4 off, v[50:53], off offset:16
	s_swappc_b64 s[30:31], s[18:19]
	scratch_load_dword v36, off, off offset:16
	scratch_load_dword v78, off, off offset:32
	scratch_load_dwordx4 v[0:3], off, off offset:272
	scratch_load_dwordx4 v[16:19], off, off offset:32
	;; [unrolled: 1-line block ×6, first 2 shown]
	scratch_load_dword v4, off, off offset:48
	scratch_load_dwordx4 v[12:15], off, off offset:288
	scratch_load_dwordx4 v[28:31], off, off offset:352
	scratch_load_dwordx4 v[38:41], off, off offset:48
	scratch_load_dwordx4 v[42:45], off, off offset:384
	scratch_load_dwordx4 v[46:49], off, off offset:320
	scratch_load_dwordx4 v[50:53], off, off offset:144
	scratch_load_dwordx4 v[54:57], off, off offset:160
	scratch_load_dwordx4 v[58:61], off, off offset:192
	scratch_load_dwordx4 v[62:65], off, off offset:176
	scratch_load_dwordx4 v[66:69], off, off offset:208
	scratch_load_dwordx4 v[70:73], off, off offset:224
	scratch_load_dwordx4 v[74:77], off, off offset:256
	s_waitcnt vmcnt(17)
	v_add_u32_e32 v16, s1, v35
	v_mul_lo_u32 v16, v16, s28
	v_add3_u32 v37, s17, v37, v16
	s_waitcnt vmcnt(9)
	v_add_u32_e32 v38, s28, v37
	v_add_u32_e32 v80, s28, v38
	s_lshl_b32 s1, s28, 6
	v_add_u32_e32 v16, 64, v80
	v_add_u32_e32 v82, s28, v16
	;; [unrolled: 1-line block ×3, first 2 shown]
	scratch_load_dwordx4 v[32:35], off, off offset:240
	s_mov_b32 s0, 0xc0c0500
	v_add_u32_e32 v81, s28, v80
	s_mov_b32 s7, 0x20000
	v_add_u32_e32 v83, s1, v81
	v_add_u32_e32 v79, 64, v38
	v_subrev_u32_e32 v85, 64, v84
	v_dot4c_i32_i8_e32 v12, v36, v4
	v_dot4c_i32_i8_e32 v13, v36, v39
	;; [unrolled: 1-line block ×4, first 2 shown]
	s_waitcnt vmcnt(9)
	v_dot4c_i32_i8_e32 v42, v7, v4
	v_dot4c_i32_i8_e32 v43, v7, v39
	v_dot4c_i32_i8_e32 v44, v7, v40
	v_dot4c_i32_i8_e32 v24, v7, v78
	v_dot4c_i32_i8_e32 v25, v7, v17
	v_dot4c_i32_i8_e32 v26, v7, v18
	v_dot4c_i32_i8_e32 v27, v7, v19
	v_dot4c_i32_i8_e32 v45, v7, v41
	v_dot4c_i32_i8_e32 v28, v6, v4
	v_dot4c_i32_i8_e32 v29, v6, v39
	v_dot4c_i32_i8_e32 v30, v6, v40
	scratch_store_dwordx4 off, v[24:27], off offset:368
	scratch_store_dwordx4 off, v[42:45], off offset:384
	v_dot4c_i32_i8_e32 v31, v6, v41
	v_dot4c_i32_i8_e32 v2, v36, v18
	;; [unrolled: 1-line block ×10, first 2 shown]
	scratch_load_dwordx4 v[16:19], off, off offset:368
	scratch_load_dwordx4 v[24:27], off, off offset:384
	v_dot4c_i32_i8_e32 v8, v5, v78
	scratch_store_dwordx4 off, v[28:31], off offset:352
	scratch_load_dwordx4 v[28:31], off, off offset:352
	s_waitcnt vmcnt(14)
	v_dot4c_i32_i8_e32 v46, v5, v4
	scratch_store_dwordx4 off, v[20:23], off offset:336
	scratch_load_dwordx4 v[20:23], off, off offset:336
	v_dot4c_i32_i8_e32 v47, v5, v39
	scratch_store_dwordx4 off, v[8:11], off offset:304
	v_dot4c_i32_i8_e32 v48, v5, v40
	v_dot4c_i32_i8_e32 v49, v5, v41
	scratch_load_dwordx4 v[4:7], off, off offset:304
	v_dot4c_i32_i8_e32 v14, v36, v40
	v_dot4c_i32_i8_e32 v15, v36, v41
	scratch_store_dwordx4 off, v[46:49], off offset:320
	scratch_load_dwordx4 v[8:11], off, off offset:320
	s_waitcnt vmcnt(19)
	v_lshlrev_b32_e32 v36, 8, v51
	scratch_store_dwordx4 off, v[12:15], off offset:288
	scratch_load_dwordx4 v[12:15], off, off offset:288
	v_lshlrev_b32_e32 v39, 16, v52
	scratch_store_dwordx4 off, v[0:3], off offset:272
	scratch_load_dwordx4 v[0:3], off, off offset:272
	v_lshlrev_b32_e32 v40, 24, v53
	s_waitcnt vmcnt(22)
	v_lshlrev_b32_e32 v41, 8, v55
	v_lshlrev_b32_e32 v42, 16, v56
	v_lshlrev_b32_e32 v43, 24, v57
	s_waitcnt vmcnt(21)
	v_lshlrev_b32_e32 v44, 8, v59
	v_lshlrev_b32_e32 v45, 16, v60
	;; [unrolled: 4-line block ×3, first 2 shown]
	s_waitcnt vmcnt(19)
	v_lshlrev_b32_e32 v56, 8, v67
	v_lshlrev_b32_e32 v57, 16, v68
	s_waitcnt vmcnt(18)
	v_lshlrev_b32_e32 v60, 8, v71
	v_lshlrev_b32_e32 v61, 16, v72
	s_waitcnt vmcnt(17)
	v_lshlrev_b32_e32 v47, 8, v75
	v_lshlrev_b32_e32 v48, 16, v76
	s_waitcnt vmcnt(16)
	v_lshlrev_b32_e32 v33, 8, v33
	v_lshlrev_b32_e32 v34, 16, v34
	v_and_b32_e32 v39, 0xff0000, v39
	v_perm_b32 v36, v36, v50, s0
	v_lshlrev_b32_e32 v55, 24, v65
	v_lshlrev_b32_e32 v59, 24, v69
	;; [unrolled: 1-line block ×5, first 2 shown]
	v_and_b32_e32 v42, 0xff0000, v42
	v_perm_b32 v41, v41, v54, s0
	v_and_b32_e32 v45, 0xff0000, v45
	v_perm_b32 v44, v44, v58, s0
	;; [unrolled: 2-line block ×7, first 2 shown]
	v_or3_b32 v33, v36, v39, v40
	v_or3_b32 v36, v41, v42, v43
	v_or3_b32 v39, v44, v45, v51
	v_or3_b32 v40, v52, v50, v55
	v_or3_b32 v41, v54, v53, v59
	v_or3_b32 v42, v57, v56, v46
	v_or3_b32 v43, v47, v48, v49
	v_or3_b32 v32, v32, v34, v35
	buffer_store_dword v33, v37, s[4:7], 0 offen
	buffer_store_dword v36, v37, s[4:7], 0 offen offset:64
	buffer_store_dword v39, v79, s[4:7], 0 offen
	buffer_store_dword v40, v38, s[4:7], 0 offen
	;; [unrolled: 1-line block ×3, first 2 shown]
	buffer_store_dword v42, v80, s[4:7], 0 offen offset:64
	buffer_store_dword v43, v82, s[4:7], 0 offen
	buffer_store_dword v32, v81, s[4:7], 0 offen
	s_waitcnt vmcnt(21)
	v_lshlrev_b32_e32 v17, 8, v17
	v_lshlrev_b32_e32 v18, 16, v18
	s_waitcnt vmcnt(20)
	v_lshlrev_b32_e32 v25, 8, v25
	v_lshlrev_b32_e32 v26, 16, v26
	;; [unrolled: 1-line block ×4, first 2 shown]
	s_waitcnt vmcnt(18)
	v_lshlrev_b32_e32 v29, 8, v29
	v_lshlrev_b32_e32 v30, 16, v30
	v_and_b32_e32 v18, 0xff0000, v18
	v_perm_b32 v16, v17, v16, s0
	v_and_b32_e32 v17, 0xff0000, v26
	v_perm_b32 v24, v25, v24, s0
	v_lshlrev_b32_e32 v31, 24, v31
	s_waitcnt vmcnt(16)
	v_lshlrev_b32_e32 v21, 8, v21
	v_lshlrev_b32_e32 v22, 16, v22
	v_and_b32_e32 v25, 0xff0000, v30
	v_perm_b32 v26, v29, v28, s0
	v_or3_b32 v16, v16, v18, v19
	v_or3_b32 v17, v24, v17, v27
	v_and_b32_e32 v22, 0xff0000, v22
	v_or3_b32 v18, v26, v25, v31
	buffer_store_dword v16, v83, s[4:7], 0 offen
	buffer_store_dword v17, v83, s[4:7], 0 offen offset:64
	buffer_store_dword v18, v84, s[4:7], 0 offen
	v_perm_b32 v16, v21, v20, s0
	v_lshlrev_b32_e32 v17, 24, v23
	s_waitcnt vmcnt(17)
	v_lshlrev_b32_e32 v5, 8, v5
	v_lshlrev_b32_e32 v6, 16, v6
	v_or3_b32 v16, v16, v22, v17
	v_and_b32_e32 v6, 0xff0000, v6
	v_perm_b32 v4, v5, v4, s0
	v_lshlrev_b32_e32 v5, 24, v7
	buffer_store_dword v16, v85, s[4:7], 0 offen
	v_subrev_u32_e32 v16, s28, v85
	v_or3_b32 v4, v4, v6, v5
	buffer_store_dword v4, v16, s[4:7], 0 offen
	s_waitcnt vmcnt(17)
	v_lshlrev_b32_e32 v4, 8, v9
	v_lshlrev_b32_e32 v5, 16, v10
	v_and_b32_e32 v5, 0xff0000, v5
	v_perm_b32 v4, v4, v8, s0
	v_lshlrev_b32_e32 v6, 24, v11
	v_or3_b32 v4, v4, v5, v6
	s_waitcnt vmcnt(15)
	v_lshlrev_b32_e32 v6, 8, v13
	v_lshlrev_b32_e32 v7, 16, v14
	s_waitcnt vmcnt(13)
	v_lshlrev_b32_e32 v1, 8, v1
	v_lshlrev_b32_e32 v2, 16, v2
	buffer_store_dword v4, v16, s[4:7], 0 offen offset:64
	v_subrev_u32_e32 v4, s28, v16
	v_and_b32_e32 v7, 0xff0000, v7
	v_perm_b32 v6, v6, v12, s0
	v_lshlrev_b32_e32 v8, 24, v15
	v_and_b32_e32 v2, 0xff0000, v2
	v_perm_b32 v0, v1, v0, s0
	v_lshlrev_b32_e32 v1, 24, v3
	v_add_u32_e32 v5, 64, v4
	v_or3_b32 v6, v6, v7, v8
	v_or3_b32 v0, v0, v2, v1
	buffer_store_dword v6, v5, s[4:7], 0 offen
	buffer_store_dword v0, v4, s[4:7], 0 offen
	s_endpgm
	.section	.rodata,"a",@progbits
	.p2align	6, 0x0
	.amdhsa_kernel _ZN2ck19kernel_gemm_dl_v1r3INS_28GridwiseGemmDl_km_kn_mn_v1r3ILi256EaiaLNS_25InMemoryDataOperationEnumE0ENS_16TensorDescriptorINS_5TupleIJNS_5EmbedINS4_IJiiEEENS4_IJNS_17integral_constantIiLi1EEEiEEELb0EEENS_7UnMergeINS4_IJiNS7_IiLi4EEEEEELb0EEENS_11PassThroughIiEEEEENS4_IJNS_8SequenceIJLi0EEEENSI_IJLi2EEEENSI_IJLi1EEEEEEENS4_IJNSI_IJLi1ELi2EEEENSI_IJLi3ELi4EEEENSI_IJLi5EEEEEEENSI_IJLi3ELi5ELi4EEEElEENS3_INS4_IJNS5_IS6_NS4_IJiS8_EEELb0EEESE_SG_EEENS4_IJSJ_SL_SK_EEESQ_SR_lEENS3_INS4_IJSU_SG_SG_EEESW_NS4_IJSN_NSI_IJLi3EEEENSI_IJLi4EEEEEEESO_lEELi128ELi128ELi16ELi4ELi4ELi4ELi1ENSI_IJLi8ELi2EEEES13_NSI_IJLi2ELi1ELi4ELi4EEEENSI_IJLi8ELi1ELi32ELi1EEEENSI_IJLi0ELi3ELi1ELi2EEEES16_NSI_IJLi1ELi1ELi4ELi1EEEES16_NSI_IJLi1ELi1ELi4ELi4EEEES14_S15_S16_S16_S17_S16_S18_NSI_IJLi0ELi1ELi2ELi3ELi4ELi5EEEELi5ELi4EEEaaNS3_INS4_IJSA_SE_SG_SG_NSB_INS4_IJiNS7_IiLi128EEEEEELb0EEENSF_ISC_EEEEENS4_IJSJ_SK_SL_SZ_SP_S10_EEENS4_IJSN_SO_SP_NSI_IJLi6EEEENSI_IJLi7ELi8EEEENSI_IJLi9EEEEEEENSI_IJLi6ELi7ELi8ELi9EEEElEENS3_INS4_IJSU_SE_SG_SG_S1D_S1E_EEENS4_IJSJ_SL_SK_SZ_SP_S10_EEES1K_S1L_lEENS3_INS4_IJSU_SG_SG_NSB_INS4_IJiNS7_IiLi2EEENS7_IiLi64EEEEEELb0EEES1T_EEENS4_IJSJ_SL_SK_SZ_S10_EEENS4_IJSN_SZ_S10_NSI_IJLi5ELi6ELi7EEEENSI_IJLi8ELi9ELi10EEEEEEENSI_IJLi5ELi6ELi7ELi8ELi9ELi10EEEElEENS_31BlockToCTileMap_M00_N00_M01_N01ILi128ELi128ES12_Lb0EEELb1ELb1EEEvPKT0_S25_PT1_T2_T3_T4_T5_
		.amdhsa_group_segment_fixed_size 32768
		.amdhsa_private_segment_fixed_size 480
		.amdhsa_kernarg_size 328
		.amdhsa_user_sgpr_count 2
		.amdhsa_user_sgpr_dispatch_ptr 0
		.amdhsa_user_sgpr_queue_ptr 0
		.amdhsa_user_sgpr_kernarg_segment_ptr 1
		.amdhsa_user_sgpr_dispatch_id 0
		.amdhsa_user_sgpr_kernarg_preload_length 0
		.amdhsa_user_sgpr_kernarg_preload_offset 0
		.amdhsa_user_sgpr_private_segment_size 0
		.amdhsa_uses_dynamic_stack 0
		.amdhsa_enable_private_segment 1
		.amdhsa_system_sgpr_workgroup_id_x 1
		.amdhsa_system_sgpr_workgroup_id_y 0
		.amdhsa_system_sgpr_workgroup_id_z 0
		.amdhsa_system_sgpr_workgroup_info 0
		.amdhsa_system_vgpr_workitem_id 0
		.amdhsa_next_free_vgpr 146
		.amdhsa_next_free_sgpr 46
		.amdhsa_accum_offset 148
		.amdhsa_reserve_vcc 1
		.amdhsa_float_round_mode_32 0
		.amdhsa_float_round_mode_16_64 0
		.amdhsa_float_denorm_mode_32 3
		.amdhsa_float_denorm_mode_16_64 3
		.amdhsa_dx10_clamp 1
		.amdhsa_ieee_mode 1
		.amdhsa_fp16_overflow 0
		.amdhsa_tg_split 0
		.amdhsa_exception_fp_ieee_invalid_op 0
		.amdhsa_exception_fp_denorm_src 0
		.amdhsa_exception_fp_ieee_div_zero 0
		.amdhsa_exception_fp_ieee_overflow 0
		.amdhsa_exception_fp_ieee_underflow 0
		.amdhsa_exception_fp_ieee_inexact 0
		.amdhsa_exception_int_div_zero 0
	.end_amdhsa_kernel
	.section	.text._ZN2ck19kernel_gemm_dl_v1r3INS_28GridwiseGemmDl_km_kn_mn_v1r3ILi256EaiaLNS_25InMemoryDataOperationEnumE0ENS_16TensorDescriptorINS_5TupleIJNS_5EmbedINS4_IJiiEEENS4_IJNS_17integral_constantIiLi1EEEiEEELb0EEENS_7UnMergeINS4_IJiNS7_IiLi4EEEEEELb0EEENS_11PassThroughIiEEEEENS4_IJNS_8SequenceIJLi0EEEENSI_IJLi2EEEENSI_IJLi1EEEEEEENS4_IJNSI_IJLi1ELi2EEEENSI_IJLi3ELi4EEEENSI_IJLi5EEEEEEENSI_IJLi3ELi5ELi4EEEElEENS3_INS4_IJNS5_IS6_NS4_IJiS8_EEELb0EEESE_SG_EEENS4_IJSJ_SL_SK_EEESQ_SR_lEENS3_INS4_IJSU_SG_SG_EEESW_NS4_IJSN_NSI_IJLi3EEEENSI_IJLi4EEEEEEESO_lEELi128ELi128ELi16ELi4ELi4ELi4ELi1ENSI_IJLi8ELi2EEEES13_NSI_IJLi2ELi1ELi4ELi4EEEENSI_IJLi8ELi1ELi32ELi1EEEENSI_IJLi0ELi3ELi1ELi2EEEES16_NSI_IJLi1ELi1ELi4ELi1EEEES16_NSI_IJLi1ELi1ELi4ELi4EEEES14_S15_S16_S16_S17_S16_S18_NSI_IJLi0ELi1ELi2ELi3ELi4ELi5EEEELi5ELi4EEEaaNS3_INS4_IJSA_SE_SG_SG_NSB_INS4_IJiNS7_IiLi128EEEEEELb0EEENSF_ISC_EEEEENS4_IJSJ_SK_SL_SZ_SP_S10_EEENS4_IJSN_SO_SP_NSI_IJLi6EEEENSI_IJLi7ELi8EEEENSI_IJLi9EEEEEEENSI_IJLi6ELi7ELi8ELi9EEEElEENS3_INS4_IJSU_SE_SG_SG_S1D_S1E_EEENS4_IJSJ_SL_SK_SZ_SP_S10_EEES1K_S1L_lEENS3_INS4_IJSU_SG_SG_NSB_INS4_IJiNS7_IiLi2EEENS7_IiLi64EEEEEELb0EEES1T_EEENS4_IJSJ_SL_SK_SZ_S10_EEENS4_IJSN_SZ_S10_NSI_IJLi5ELi6ELi7EEEENSI_IJLi8ELi9ELi10EEEEEEENSI_IJLi5ELi6ELi7ELi8ELi9ELi10EEEElEENS_31BlockToCTileMap_M00_N00_M01_N01ILi128ELi128ES12_Lb0EEELb1ELb1EEEvPKT0_S25_PT1_T2_T3_T4_T5_,"axG",@progbits,_ZN2ck19kernel_gemm_dl_v1r3INS_28GridwiseGemmDl_km_kn_mn_v1r3ILi256EaiaLNS_25InMemoryDataOperationEnumE0ENS_16TensorDescriptorINS_5TupleIJNS_5EmbedINS4_IJiiEEENS4_IJNS_17integral_constantIiLi1EEEiEEELb0EEENS_7UnMergeINS4_IJiNS7_IiLi4EEEEEELb0EEENS_11PassThroughIiEEEEENS4_IJNS_8SequenceIJLi0EEEENSI_IJLi2EEEENSI_IJLi1EEEEEEENS4_IJNSI_IJLi1ELi2EEEENSI_IJLi3ELi4EEEENSI_IJLi5EEEEEEENSI_IJLi3ELi5ELi4EEEElEENS3_INS4_IJNS5_IS6_NS4_IJiS8_EEELb0EEESE_SG_EEENS4_IJSJ_SL_SK_EEESQ_SR_lEENS3_INS4_IJSU_SG_SG_EEESW_NS4_IJSN_NSI_IJLi3EEEENSI_IJLi4EEEEEEESO_lEELi128ELi128ELi16ELi4ELi4ELi4ELi1ENSI_IJLi8ELi2EEEES13_NSI_IJLi2ELi1ELi4ELi4EEEENSI_IJLi8ELi1ELi32ELi1EEEENSI_IJLi0ELi3ELi1ELi2EEEES16_NSI_IJLi1ELi1ELi4ELi1EEEES16_NSI_IJLi1ELi1ELi4ELi4EEEES14_S15_S16_S16_S17_S16_S18_NSI_IJLi0ELi1ELi2ELi3ELi4ELi5EEEELi5ELi4EEEaaNS3_INS4_IJSA_SE_SG_SG_NSB_INS4_IJiNS7_IiLi128EEEEEELb0EEENSF_ISC_EEEEENS4_IJSJ_SK_SL_SZ_SP_S10_EEENS4_IJSN_SO_SP_NSI_IJLi6EEEENSI_IJLi7ELi8EEEENSI_IJLi9EEEEEEENSI_IJLi6ELi7ELi8ELi9EEEElEENS3_INS4_IJSU_SE_SG_SG_S1D_S1E_EEENS4_IJSJ_SL_SK_SZ_SP_S10_EEES1K_S1L_lEENS3_INS4_IJSU_SG_SG_NSB_INS4_IJiNS7_IiLi2EEENS7_IiLi64EEEEEELb0EEES1T_EEENS4_IJSJ_SL_SK_SZ_S10_EEENS4_IJSN_SZ_S10_NSI_IJLi5ELi6ELi7EEEENSI_IJLi8ELi9ELi10EEEEEEENSI_IJLi5ELi6ELi7ELi8ELi9ELi10EEEElEENS_31BlockToCTileMap_M00_N00_M01_N01ILi128ELi128ES12_Lb0EEELb1ELb1EEEvPKT0_S25_PT1_T2_T3_T4_T5_,comdat
.Lfunc_end2:
	.size	_ZN2ck19kernel_gemm_dl_v1r3INS_28GridwiseGemmDl_km_kn_mn_v1r3ILi256EaiaLNS_25InMemoryDataOperationEnumE0ENS_16TensorDescriptorINS_5TupleIJNS_5EmbedINS4_IJiiEEENS4_IJNS_17integral_constantIiLi1EEEiEEELb0EEENS_7UnMergeINS4_IJiNS7_IiLi4EEEEEELb0EEENS_11PassThroughIiEEEEENS4_IJNS_8SequenceIJLi0EEEENSI_IJLi2EEEENSI_IJLi1EEEEEEENS4_IJNSI_IJLi1ELi2EEEENSI_IJLi3ELi4EEEENSI_IJLi5EEEEEEENSI_IJLi3ELi5ELi4EEEElEENS3_INS4_IJNS5_IS6_NS4_IJiS8_EEELb0EEESE_SG_EEENS4_IJSJ_SL_SK_EEESQ_SR_lEENS3_INS4_IJSU_SG_SG_EEESW_NS4_IJSN_NSI_IJLi3EEEENSI_IJLi4EEEEEEESO_lEELi128ELi128ELi16ELi4ELi4ELi4ELi1ENSI_IJLi8ELi2EEEES13_NSI_IJLi2ELi1ELi4ELi4EEEENSI_IJLi8ELi1ELi32ELi1EEEENSI_IJLi0ELi3ELi1ELi2EEEES16_NSI_IJLi1ELi1ELi4ELi1EEEES16_NSI_IJLi1ELi1ELi4ELi4EEEES14_S15_S16_S16_S17_S16_S18_NSI_IJLi0ELi1ELi2ELi3ELi4ELi5EEEELi5ELi4EEEaaNS3_INS4_IJSA_SE_SG_SG_NSB_INS4_IJiNS7_IiLi128EEEEEELb0EEENSF_ISC_EEEEENS4_IJSJ_SK_SL_SZ_SP_S10_EEENS4_IJSN_SO_SP_NSI_IJLi6EEEENSI_IJLi7ELi8EEEENSI_IJLi9EEEEEEENSI_IJLi6ELi7ELi8ELi9EEEElEENS3_INS4_IJSU_SE_SG_SG_S1D_S1E_EEENS4_IJSJ_SL_SK_SZ_SP_S10_EEES1K_S1L_lEENS3_INS4_IJSU_SG_SG_NSB_INS4_IJiNS7_IiLi2EEENS7_IiLi64EEEEEELb0EEES1T_EEENS4_IJSJ_SL_SK_SZ_S10_EEENS4_IJSN_SZ_S10_NSI_IJLi5ELi6ELi7EEEENSI_IJLi8ELi9ELi10EEEEEEENSI_IJLi5ELi6ELi7ELi8ELi9ELi10EEEElEENS_31BlockToCTileMap_M00_N00_M01_N01ILi128ELi128ES12_Lb0EEELb1ELb1EEEvPKT0_S25_PT1_T2_T3_T4_T5_, .Lfunc_end2-_ZN2ck19kernel_gemm_dl_v1r3INS_28GridwiseGemmDl_km_kn_mn_v1r3ILi256EaiaLNS_25InMemoryDataOperationEnumE0ENS_16TensorDescriptorINS_5TupleIJNS_5EmbedINS4_IJiiEEENS4_IJNS_17integral_constantIiLi1EEEiEEELb0EEENS_7UnMergeINS4_IJiNS7_IiLi4EEEEEELb0EEENS_11PassThroughIiEEEEENS4_IJNS_8SequenceIJLi0EEEENSI_IJLi2EEEENSI_IJLi1EEEEEEENS4_IJNSI_IJLi1ELi2EEEENSI_IJLi3ELi4EEEENSI_IJLi5EEEEEEENSI_IJLi3ELi5ELi4EEEElEENS3_INS4_IJNS5_IS6_NS4_IJiS8_EEELb0EEESE_SG_EEENS4_IJSJ_SL_SK_EEESQ_SR_lEENS3_INS4_IJSU_SG_SG_EEESW_NS4_IJSN_NSI_IJLi3EEEENSI_IJLi4EEEEEEESO_lEELi128ELi128ELi16ELi4ELi4ELi4ELi1ENSI_IJLi8ELi2EEEES13_NSI_IJLi2ELi1ELi4ELi4EEEENSI_IJLi8ELi1ELi32ELi1EEEENSI_IJLi0ELi3ELi1ELi2EEEES16_NSI_IJLi1ELi1ELi4ELi1EEEES16_NSI_IJLi1ELi1ELi4ELi4EEEES14_S15_S16_S16_S17_S16_S18_NSI_IJLi0ELi1ELi2ELi3ELi4ELi5EEEELi5ELi4EEEaaNS3_INS4_IJSA_SE_SG_SG_NSB_INS4_IJiNS7_IiLi128EEEEEELb0EEENSF_ISC_EEEEENS4_IJSJ_SK_SL_SZ_SP_S10_EEENS4_IJSN_SO_SP_NSI_IJLi6EEEENSI_IJLi7ELi8EEEENSI_IJLi9EEEEEEENSI_IJLi6ELi7ELi8ELi9EEEElEENS3_INS4_IJSU_SE_SG_SG_S1D_S1E_EEENS4_IJSJ_SL_SK_SZ_SP_S10_EEES1K_S1L_lEENS3_INS4_IJSU_SG_SG_NSB_INS4_IJiNS7_IiLi2EEENS7_IiLi64EEEEEELb0EEES1T_EEENS4_IJSJ_SL_SK_SZ_S10_EEENS4_IJSN_SZ_S10_NSI_IJLi5ELi6ELi7EEEENSI_IJLi8ELi9ELi10EEEEEEENSI_IJLi5ELi6ELi7ELi8ELi9ELi10EEEElEENS_31BlockToCTileMap_M00_N00_M01_N01ILi128ELi128ES12_Lb0EEELb1ELb1EEEvPKT0_S25_PT1_T2_T3_T4_T5_
                                        ; -- End function
	.section	.AMDGPU.csdata,"",@progbits
; Kernel info:
; codeLenInByte = 9668
; NumSgprs: 52
; NumVgprs: 146
; NumAgprs: 0
; TotalNumVgprs: 146
; ScratchSize: 480
; MemoryBound: 0
; FloatMode: 240
; IeeeMode: 1
; LDSByteSize: 32768 bytes/workgroup (compile time only)
; SGPRBlocks: 6
; VGPRBlocks: 18
; NumSGPRsForWavesPerEU: 52
; NumVGPRsForWavesPerEU: 146
; AccumOffset: 148
; Occupancy: 2
; WaveLimiterHint : 1
; COMPUTE_PGM_RSRC2:SCRATCH_EN: 1
; COMPUTE_PGM_RSRC2:USER_SGPR: 2
; COMPUTE_PGM_RSRC2:TRAP_HANDLER: 0
; COMPUTE_PGM_RSRC2:TGID_X_EN: 1
; COMPUTE_PGM_RSRC2:TGID_Y_EN: 0
; COMPUTE_PGM_RSRC2:TGID_Z_EN: 0
; COMPUTE_PGM_RSRC2:TIDIG_COMP_CNT: 0
; COMPUTE_PGM_RSRC3_GFX90A:ACCUM_OFFSET: 36
; COMPUTE_PGM_RSRC3_GFX90A:TG_SPLIT: 0
	.section	.text._ZN2ck19kernel_gemm_dl_v1r3INS_28GridwiseGemmDl_km_kn_mn_v1r3ILi256EaiaLNS_25InMemoryDataOperationEnumE0ENS_16TensorDescriptorINS_5TupleIJNS_5EmbedINS4_IJiiEEENS4_IJNS_17integral_constantIiLi1EEEiEEELb0EEENS_7UnMergeINS4_IJiNS7_IiLi4EEEEEELb0EEENS_11PassThroughIiEEEEENS4_IJNS_8SequenceIJLi0EEEENSI_IJLi2EEEENSI_IJLi1EEEEEEENS4_IJNSI_IJLi1ELi2EEEENSI_IJLi3ELi4EEEENSI_IJLi5EEEEEEENSI_IJLi3ELi5ELi4EEEElEENS3_INS4_IJNS5_IS6_NS4_IJiS8_EEELb0EEESE_SG_EEENS4_IJSJ_SL_SK_EEESQ_SR_lEENS3_INS4_IJSU_SG_SG_EEESW_NS4_IJSN_NSI_IJLi3EEEENSI_IJLi4EEEEEEESO_lEELi128ELi128ELi16ELi4ELi4ELi4ELi1ENSI_IJLi8ELi2EEEES13_NSI_IJLi2ELi1ELi4ELi4EEEENSI_IJLi8ELi1ELi32ELi1EEEENSI_IJLi0ELi3ELi1ELi2EEEES16_NSI_IJLi1ELi1ELi4ELi1EEEES16_NSI_IJLi1ELi1ELi4ELi4EEEES14_S15_S16_S16_S17_S16_S18_NSI_IJLi0ELi1ELi2ELi3ELi4ELi5EEEELi5ELi4EEEaaNS3_INS4_IJSA_SE_SG_SG_NSB_INS4_IJiNS7_IiLi128EEEEEELb0EEENSF_ISC_EEEEENS4_IJSJ_SK_SL_SZ_SP_S10_EEENS4_IJSN_SO_SP_NSI_IJLi6EEEENSI_IJLi7ELi8EEEENSI_IJLi9EEEEEEENSI_IJLi6ELi7ELi8ELi9EEEElEENS3_INS4_IJSU_SE_SG_SG_S1D_S1E_EEENS4_IJSJ_SL_SK_SZ_SP_S10_EEES1K_S1L_lEENS3_INS4_IJSU_SG_SG_NSB_INS4_IJiNS7_IiLi2EEENS7_IiLi64EEEEEELb0EEES1T_EEENS4_IJSJ_SL_SK_SZ_S10_EEENS4_IJSN_SZ_S10_NSI_IJLi5ELi6ELi7EEEENSI_IJLi8ELi9ELi10EEEEEEENSI_IJLi5ELi6ELi7ELi8ELi9ELi10EEEElEENS_31BlockToCTileMap_M00_N00_M01_N01ILi128ELi128ES12_Lb0EEELb1ELb0EEEvPKT0_S25_PT1_T2_T3_T4_T5_,"axG",@progbits,_ZN2ck19kernel_gemm_dl_v1r3INS_28GridwiseGemmDl_km_kn_mn_v1r3ILi256EaiaLNS_25InMemoryDataOperationEnumE0ENS_16TensorDescriptorINS_5TupleIJNS_5EmbedINS4_IJiiEEENS4_IJNS_17integral_constantIiLi1EEEiEEELb0EEENS_7UnMergeINS4_IJiNS7_IiLi4EEEEEELb0EEENS_11PassThroughIiEEEEENS4_IJNS_8SequenceIJLi0EEEENSI_IJLi2EEEENSI_IJLi1EEEEEEENS4_IJNSI_IJLi1ELi2EEEENSI_IJLi3ELi4EEEENSI_IJLi5EEEEEEENSI_IJLi3ELi5ELi4EEEElEENS3_INS4_IJNS5_IS6_NS4_IJiS8_EEELb0EEESE_SG_EEENS4_IJSJ_SL_SK_EEESQ_SR_lEENS3_INS4_IJSU_SG_SG_EEESW_NS4_IJSN_NSI_IJLi3EEEENSI_IJLi4EEEEEEESO_lEELi128ELi128ELi16ELi4ELi4ELi4ELi1ENSI_IJLi8ELi2EEEES13_NSI_IJLi2ELi1ELi4ELi4EEEENSI_IJLi8ELi1ELi32ELi1EEEENSI_IJLi0ELi3ELi1ELi2EEEES16_NSI_IJLi1ELi1ELi4ELi1EEEES16_NSI_IJLi1ELi1ELi4ELi4EEEES14_S15_S16_S16_S17_S16_S18_NSI_IJLi0ELi1ELi2ELi3ELi4ELi5EEEELi5ELi4EEEaaNS3_INS4_IJSA_SE_SG_SG_NSB_INS4_IJiNS7_IiLi128EEEEEELb0EEENSF_ISC_EEEEENS4_IJSJ_SK_SL_SZ_SP_S10_EEENS4_IJSN_SO_SP_NSI_IJLi6EEEENSI_IJLi7ELi8EEEENSI_IJLi9EEEEEEENSI_IJLi6ELi7ELi8ELi9EEEElEENS3_INS4_IJSU_SE_SG_SG_S1D_S1E_EEENS4_IJSJ_SL_SK_SZ_SP_S10_EEES1K_S1L_lEENS3_INS4_IJSU_SG_SG_NSB_INS4_IJiNS7_IiLi2EEENS7_IiLi64EEEEEELb0EEES1T_EEENS4_IJSJ_SL_SK_SZ_S10_EEENS4_IJSN_SZ_S10_NSI_IJLi5ELi6ELi7EEEENSI_IJLi8ELi9ELi10EEEEEEENSI_IJLi5ELi6ELi7ELi8ELi9ELi10EEEElEENS_31BlockToCTileMap_M00_N00_M01_N01ILi128ELi128ES12_Lb0EEELb1ELb0EEEvPKT0_S25_PT1_T2_T3_T4_T5_,comdat
	.protected	_ZN2ck19kernel_gemm_dl_v1r3INS_28GridwiseGemmDl_km_kn_mn_v1r3ILi256EaiaLNS_25InMemoryDataOperationEnumE0ENS_16TensorDescriptorINS_5TupleIJNS_5EmbedINS4_IJiiEEENS4_IJNS_17integral_constantIiLi1EEEiEEELb0EEENS_7UnMergeINS4_IJiNS7_IiLi4EEEEEELb0EEENS_11PassThroughIiEEEEENS4_IJNS_8SequenceIJLi0EEEENSI_IJLi2EEEENSI_IJLi1EEEEEEENS4_IJNSI_IJLi1ELi2EEEENSI_IJLi3ELi4EEEENSI_IJLi5EEEEEEENSI_IJLi3ELi5ELi4EEEElEENS3_INS4_IJNS5_IS6_NS4_IJiS8_EEELb0EEESE_SG_EEENS4_IJSJ_SL_SK_EEESQ_SR_lEENS3_INS4_IJSU_SG_SG_EEESW_NS4_IJSN_NSI_IJLi3EEEENSI_IJLi4EEEEEEESO_lEELi128ELi128ELi16ELi4ELi4ELi4ELi1ENSI_IJLi8ELi2EEEES13_NSI_IJLi2ELi1ELi4ELi4EEEENSI_IJLi8ELi1ELi32ELi1EEEENSI_IJLi0ELi3ELi1ELi2EEEES16_NSI_IJLi1ELi1ELi4ELi1EEEES16_NSI_IJLi1ELi1ELi4ELi4EEEES14_S15_S16_S16_S17_S16_S18_NSI_IJLi0ELi1ELi2ELi3ELi4ELi5EEEELi5ELi4EEEaaNS3_INS4_IJSA_SE_SG_SG_NSB_INS4_IJiNS7_IiLi128EEEEEELb0EEENSF_ISC_EEEEENS4_IJSJ_SK_SL_SZ_SP_S10_EEENS4_IJSN_SO_SP_NSI_IJLi6EEEENSI_IJLi7ELi8EEEENSI_IJLi9EEEEEEENSI_IJLi6ELi7ELi8ELi9EEEElEENS3_INS4_IJSU_SE_SG_SG_S1D_S1E_EEENS4_IJSJ_SL_SK_SZ_SP_S10_EEES1K_S1L_lEENS3_INS4_IJSU_SG_SG_NSB_INS4_IJiNS7_IiLi2EEENS7_IiLi64EEEEEELb0EEES1T_EEENS4_IJSJ_SL_SK_SZ_S10_EEENS4_IJSN_SZ_S10_NSI_IJLi5ELi6ELi7EEEENSI_IJLi8ELi9ELi10EEEEEEENSI_IJLi5ELi6ELi7ELi8ELi9ELi10EEEElEENS_31BlockToCTileMap_M00_N00_M01_N01ILi128ELi128ES12_Lb0EEELb1ELb0EEEvPKT0_S25_PT1_T2_T3_T4_T5_ ; -- Begin function _ZN2ck19kernel_gemm_dl_v1r3INS_28GridwiseGemmDl_km_kn_mn_v1r3ILi256EaiaLNS_25InMemoryDataOperationEnumE0ENS_16TensorDescriptorINS_5TupleIJNS_5EmbedINS4_IJiiEEENS4_IJNS_17integral_constantIiLi1EEEiEEELb0EEENS_7UnMergeINS4_IJiNS7_IiLi4EEEEEELb0EEENS_11PassThroughIiEEEEENS4_IJNS_8SequenceIJLi0EEEENSI_IJLi2EEEENSI_IJLi1EEEEEEENS4_IJNSI_IJLi1ELi2EEEENSI_IJLi3ELi4EEEENSI_IJLi5EEEEEEENSI_IJLi3ELi5ELi4EEEElEENS3_INS4_IJNS5_IS6_NS4_IJiS8_EEELb0EEESE_SG_EEENS4_IJSJ_SL_SK_EEESQ_SR_lEENS3_INS4_IJSU_SG_SG_EEESW_NS4_IJSN_NSI_IJLi3EEEENSI_IJLi4EEEEEEESO_lEELi128ELi128ELi16ELi4ELi4ELi4ELi1ENSI_IJLi8ELi2EEEES13_NSI_IJLi2ELi1ELi4ELi4EEEENSI_IJLi8ELi1ELi32ELi1EEEENSI_IJLi0ELi3ELi1ELi2EEEES16_NSI_IJLi1ELi1ELi4ELi1EEEES16_NSI_IJLi1ELi1ELi4ELi4EEEES14_S15_S16_S16_S17_S16_S18_NSI_IJLi0ELi1ELi2ELi3ELi4ELi5EEEELi5ELi4EEEaaNS3_INS4_IJSA_SE_SG_SG_NSB_INS4_IJiNS7_IiLi128EEEEEELb0EEENSF_ISC_EEEEENS4_IJSJ_SK_SL_SZ_SP_S10_EEENS4_IJSN_SO_SP_NSI_IJLi6EEEENSI_IJLi7ELi8EEEENSI_IJLi9EEEEEEENSI_IJLi6ELi7ELi8ELi9EEEElEENS3_INS4_IJSU_SE_SG_SG_S1D_S1E_EEENS4_IJSJ_SL_SK_SZ_SP_S10_EEES1K_S1L_lEENS3_INS4_IJSU_SG_SG_NSB_INS4_IJiNS7_IiLi2EEENS7_IiLi64EEEEEELb0EEES1T_EEENS4_IJSJ_SL_SK_SZ_S10_EEENS4_IJSN_SZ_S10_NSI_IJLi5ELi6ELi7EEEENSI_IJLi8ELi9ELi10EEEEEEENSI_IJLi5ELi6ELi7ELi8ELi9ELi10EEEElEENS_31BlockToCTileMap_M00_N00_M01_N01ILi128ELi128ES12_Lb0EEELb1ELb0EEEvPKT0_S25_PT1_T2_T3_T4_T5_
	.globl	_ZN2ck19kernel_gemm_dl_v1r3INS_28GridwiseGemmDl_km_kn_mn_v1r3ILi256EaiaLNS_25InMemoryDataOperationEnumE0ENS_16TensorDescriptorINS_5TupleIJNS_5EmbedINS4_IJiiEEENS4_IJNS_17integral_constantIiLi1EEEiEEELb0EEENS_7UnMergeINS4_IJiNS7_IiLi4EEEEEELb0EEENS_11PassThroughIiEEEEENS4_IJNS_8SequenceIJLi0EEEENSI_IJLi2EEEENSI_IJLi1EEEEEEENS4_IJNSI_IJLi1ELi2EEEENSI_IJLi3ELi4EEEENSI_IJLi5EEEEEEENSI_IJLi3ELi5ELi4EEEElEENS3_INS4_IJNS5_IS6_NS4_IJiS8_EEELb0EEESE_SG_EEENS4_IJSJ_SL_SK_EEESQ_SR_lEENS3_INS4_IJSU_SG_SG_EEESW_NS4_IJSN_NSI_IJLi3EEEENSI_IJLi4EEEEEEESO_lEELi128ELi128ELi16ELi4ELi4ELi4ELi1ENSI_IJLi8ELi2EEEES13_NSI_IJLi2ELi1ELi4ELi4EEEENSI_IJLi8ELi1ELi32ELi1EEEENSI_IJLi0ELi3ELi1ELi2EEEES16_NSI_IJLi1ELi1ELi4ELi1EEEES16_NSI_IJLi1ELi1ELi4ELi4EEEES14_S15_S16_S16_S17_S16_S18_NSI_IJLi0ELi1ELi2ELi3ELi4ELi5EEEELi5ELi4EEEaaNS3_INS4_IJSA_SE_SG_SG_NSB_INS4_IJiNS7_IiLi128EEEEEELb0EEENSF_ISC_EEEEENS4_IJSJ_SK_SL_SZ_SP_S10_EEENS4_IJSN_SO_SP_NSI_IJLi6EEEENSI_IJLi7ELi8EEEENSI_IJLi9EEEEEEENSI_IJLi6ELi7ELi8ELi9EEEElEENS3_INS4_IJSU_SE_SG_SG_S1D_S1E_EEENS4_IJSJ_SL_SK_SZ_SP_S10_EEES1K_S1L_lEENS3_INS4_IJSU_SG_SG_NSB_INS4_IJiNS7_IiLi2EEENS7_IiLi64EEEEEELb0EEES1T_EEENS4_IJSJ_SL_SK_SZ_S10_EEENS4_IJSN_SZ_S10_NSI_IJLi5ELi6ELi7EEEENSI_IJLi8ELi9ELi10EEEEEEENSI_IJLi5ELi6ELi7ELi8ELi9ELi10EEEElEENS_31BlockToCTileMap_M00_N00_M01_N01ILi128ELi128ES12_Lb0EEELb1ELb0EEEvPKT0_S25_PT1_T2_T3_T4_T5_
	.p2align	8
	.type	_ZN2ck19kernel_gemm_dl_v1r3INS_28GridwiseGemmDl_km_kn_mn_v1r3ILi256EaiaLNS_25InMemoryDataOperationEnumE0ENS_16TensorDescriptorINS_5TupleIJNS_5EmbedINS4_IJiiEEENS4_IJNS_17integral_constantIiLi1EEEiEEELb0EEENS_7UnMergeINS4_IJiNS7_IiLi4EEEEEELb0EEENS_11PassThroughIiEEEEENS4_IJNS_8SequenceIJLi0EEEENSI_IJLi2EEEENSI_IJLi1EEEEEEENS4_IJNSI_IJLi1ELi2EEEENSI_IJLi3ELi4EEEENSI_IJLi5EEEEEEENSI_IJLi3ELi5ELi4EEEElEENS3_INS4_IJNS5_IS6_NS4_IJiS8_EEELb0EEESE_SG_EEENS4_IJSJ_SL_SK_EEESQ_SR_lEENS3_INS4_IJSU_SG_SG_EEESW_NS4_IJSN_NSI_IJLi3EEEENSI_IJLi4EEEEEEESO_lEELi128ELi128ELi16ELi4ELi4ELi4ELi1ENSI_IJLi8ELi2EEEES13_NSI_IJLi2ELi1ELi4ELi4EEEENSI_IJLi8ELi1ELi32ELi1EEEENSI_IJLi0ELi3ELi1ELi2EEEES16_NSI_IJLi1ELi1ELi4ELi1EEEES16_NSI_IJLi1ELi1ELi4ELi4EEEES14_S15_S16_S16_S17_S16_S18_NSI_IJLi0ELi1ELi2ELi3ELi4ELi5EEEELi5ELi4EEEaaNS3_INS4_IJSA_SE_SG_SG_NSB_INS4_IJiNS7_IiLi128EEEEEELb0EEENSF_ISC_EEEEENS4_IJSJ_SK_SL_SZ_SP_S10_EEENS4_IJSN_SO_SP_NSI_IJLi6EEEENSI_IJLi7ELi8EEEENSI_IJLi9EEEEEEENSI_IJLi6ELi7ELi8ELi9EEEElEENS3_INS4_IJSU_SE_SG_SG_S1D_S1E_EEENS4_IJSJ_SL_SK_SZ_SP_S10_EEES1K_S1L_lEENS3_INS4_IJSU_SG_SG_NSB_INS4_IJiNS7_IiLi2EEENS7_IiLi64EEEEEELb0EEES1T_EEENS4_IJSJ_SL_SK_SZ_S10_EEENS4_IJSN_SZ_S10_NSI_IJLi5ELi6ELi7EEEENSI_IJLi8ELi9ELi10EEEEEEENSI_IJLi5ELi6ELi7ELi8ELi9ELi10EEEElEENS_31BlockToCTileMap_M00_N00_M01_N01ILi128ELi128ES12_Lb0EEELb1ELb0EEEvPKT0_S25_PT1_T2_T3_T4_T5_,@function
_ZN2ck19kernel_gemm_dl_v1r3INS_28GridwiseGemmDl_km_kn_mn_v1r3ILi256EaiaLNS_25InMemoryDataOperationEnumE0ENS_16TensorDescriptorINS_5TupleIJNS_5EmbedINS4_IJiiEEENS4_IJNS_17integral_constantIiLi1EEEiEEELb0EEENS_7UnMergeINS4_IJiNS7_IiLi4EEEEEELb0EEENS_11PassThroughIiEEEEENS4_IJNS_8SequenceIJLi0EEEENSI_IJLi2EEEENSI_IJLi1EEEEEEENS4_IJNSI_IJLi1ELi2EEEENSI_IJLi3ELi4EEEENSI_IJLi5EEEEEEENSI_IJLi3ELi5ELi4EEEElEENS3_INS4_IJNS5_IS6_NS4_IJiS8_EEELb0EEESE_SG_EEENS4_IJSJ_SL_SK_EEESQ_SR_lEENS3_INS4_IJSU_SG_SG_EEESW_NS4_IJSN_NSI_IJLi3EEEENSI_IJLi4EEEEEEESO_lEELi128ELi128ELi16ELi4ELi4ELi4ELi1ENSI_IJLi8ELi2EEEES13_NSI_IJLi2ELi1ELi4ELi4EEEENSI_IJLi8ELi1ELi32ELi1EEEENSI_IJLi0ELi3ELi1ELi2EEEES16_NSI_IJLi1ELi1ELi4ELi1EEEES16_NSI_IJLi1ELi1ELi4ELi4EEEES14_S15_S16_S16_S17_S16_S18_NSI_IJLi0ELi1ELi2ELi3ELi4ELi5EEEELi5ELi4EEEaaNS3_INS4_IJSA_SE_SG_SG_NSB_INS4_IJiNS7_IiLi128EEEEEELb0EEENSF_ISC_EEEEENS4_IJSJ_SK_SL_SZ_SP_S10_EEENS4_IJSN_SO_SP_NSI_IJLi6EEEENSI_IJLi7ELi8EEEENSI_IJLi9EEEEEEENSI_IJLi6ELi7ELi8ELi9EEEElEENS3_INS4_IJSU_SE_SG_SG_S1D_S1E_EEENS4_IJSJ_SL_SK_SZ_SP_S10_EEES1K_S1L_lEENS3_INS4_IJSU_SG_SG_NSB_INS4_IJiNS7_IiLi2EEENS7_IiLi64EEEEEELb0EEES1T_EEENS4_IJSJ_SL_SK_SZ_S10_EEENS4_IJSN_SZ_S10_NSI_IJLi5ELi6ELi7EEEENSI_IJLi8ELi9ELi10EEEEEEENSI_IJLi5ELi6ELi7ELi8ELi9ELi10EEEElEENS_31BlockToCTileMap_M00_N00_M01_N01ILi128ELi128ES12_Lb0EEELb1ELb0EEEvPKT0_S25_PT1_T2_T3_T4_T5_: ; @_ZN2ck19kernel_gemm_dl_v1r3INS_28GridwiseGemmDl_km_kn_mn_v1r3ILi256EaiaLNS_25InMemoryDataOperationEnumE0ENS_16TensorDescriptorINS_5TupleIJNS_5EmbedINS4_IJiiEEENS4_IJNS_17integral_constantIiLi1EEEiEEELb0EEENS_7UnMergeINS4_IJiNS7_IiLi4EEEEEELb0EEENS_11PassThroughIiEEEEENS4_IJNS_8SequenceIJLi0EEEENSI_IJLi2EEEENSI_IJLi1EEEEEEENS4_IJNSI_IJLi1ELi2EEEENSI_IJLi3ELi4EEEENSI_IJLi5EEEEEEENSI_IJLi3ELi5ELi4EEEElEENS3_INS4_IJNS5_IS6_NS4_IJiS8_EEELb0EEESE_SG_EEENS4_IJSJ_SL_SK_EEESQ_SR_lEENS3_INS4_IJSU_SG_SG_EEESW_NS4_IJSN_NSI_IJLi3EEEENSI_IJLi4EEEEEEESO_lEELi128ELi128ELi16ELi4ELi4ELi4ELi1ENSI_IJLi8ELi2EEEES13_NSI_IJLi2ELi1ELi4ELi4EEEENSI_IJLi8ELi1ELi32ELi1EEEENSI_IJLi0ELi3ELi1ELi2EEEES16_NSI_IJLi1ELi1ELi4ELi1EEEES16_NSI_IJLi1ELi1ELi4ELi4EEEES14_S15_S16_S16_S17_S16_S18_NSI_IJLi0ELi1ELi2ELi3ELi4ELi5EEEELi5ELi4EEEaaNS3_INS4_IJSA_SE_SG_SG_NSB_INS4_IJiNS7_IiLi128EEEEEELb0EEENSF_ISC_EEEEENS4_IJSJ_SK_SL_SZ_SP_S10_EEENS4_IJSN_SO_SP_NSI_IJLi6EEEENSI_IJLi7ELi8EEEENSI_IJLi9EEEEEEENSI_IJLi6ELi7ELi8ELi9EEEElEENS3_INS4_IJSU_SE_SG_SG_S1D_S1E_EEENS4_IJSJ_SL_SK_SZ_SP_S10_EEES1K_S1L_lEENS3_INS4_IJSU_SG_SG_NSB_INS4_IJiNS7_IiLi2EEENS7_IiLi64EEEEEELb0EEES1T_EEENS4_IJSJ_SL_SK_SZ_S10_EEENS4_IJSN_SZ_S10_NSI_IJLi5ELi6ELi7EEEENSI_IJLi8ELi9ELi10EEEEEEENSI_IJLi5ELi6ELi7ELi8ELi9ELi10EEEElEENS_31BlockToCTileMap_M00_N00_M01_N01ILi128ELi128ES12_Lb0EEELb1ELb0EEEvPKT0_S25_PT1_T2_T3_T4_T5_
; %bb.0:
	s_load_dwordx4 s[20:23], s[0:1], 0x0
	s_load_dwordx2 s[4:5], s[0:1], 0x10
	s_load_dwordx4 s[16:19], s[0:1], 0x11c
	s_load_dword s30, s[0:1], 0x24
	s_load_dword s39, s[0:1], 0x38
	;; [unrolled: 1-line block ×6, first 2 shown]
	s_load_dwordx2 s[6:7], s[0:1], 0xd0
	s_load_dword s3, s[0:1], 0xec
	s_load_dwordx4 s[40:43], s[0:1], 0x130
	s_waitcnt lgkmcnt(0)
	s_load_dword s7, s[0:1], 0xfc
	s_load_dwordx4 s[24:27], s[0:1], 0x108
	s_mul_hi_u32 s0, s19, s2
	s_add_i32 s0, s2, s0
	v_lshrrev_b32_e32 v1, 4, v0
	s_lshr_b32 s0, s0, s43
	s_mul_hi_u32 s1, s0, s18
	s_add_i32 s1, s0, s1
	s_lshr_b32 s12, s1, s42
	s_mul_hi_u32 s8, s12, s17
	s_add_i32 s8, s12, s8
	;; [unrolled: 3-line block ×3, first 2 shown]
	s_lshr_b32 s8, s8, s40
	s_waitcnt lgkmcnt(0)
	s_mul_i32 s8, s8, s24
	s_mul_i32 s1, s12, s26
	s_sub_i32 s8, s13, s8
	s_sub_i32 s1, s0, s1
	s_mul_i32 s8, s8, s3
	s_add_i32 s1, s1, s8
	v_and_b32_e32 v6, 14, v1
	v_lshlrev_b32_e32 v1, 2, v0
	v_and_b32_e32 v44, 0x7c, v1
	s_lshl_b32 s1, s1, 7
	v_or_b32_e32 v2, s1, v44
	v_lshlrev_b32_e32 v7, 2, v6
	v_mad_u64_u32 v[4:5], s[8:9], s30, v7, v[2:3]
	v_lshrrev_b32_e32 v2, 5, v0
	v_lshlrev_b32_e32 v0, 1, v0
	v_and_b32_e32 v5, 0x1f8, v0
	v_and_b32_e32 v0, 0x1fc, v0
	v_lshlrev_b32_e32 v3, 6, v2
	v_sub_u32_e32 v0, v0, v5
	v_sub_u32_e32 v3, v5, v3
	v_lshl_add_u32 v35, v2, 3, v0
	v_mov_b32_e32 v34, 0
	v_and_or_b32 v37, v1, 4, v3
	v_lshlrev_b32_e32 v0, 2, v35
	v_mov_b32_e32 v1, v34
	v_mov_b32_e32 v2, v35
	s_mov_b32 s16, 0
	scratch_store_dwordx3 off, v[0:2], off offset:80
	v_mov_b32_e32 v3, v35
	s_mov_b32 s18, s16
	v_mov_b32_e32 v0, v34
	v_mov_b32_e32 v2, v34
	scratch_store_dwordx4 off, v[0:3], off offset:92
	s_mov_b32 s19, s16
	v_mov_b32_e32 v36, v34
	v_lshlrev_b32_e32 v1, 2, v37
	v_mov_b32_e32 v3, v37
	scratch_store_dwordx4 off, v[0:3], off offset:108
	s_mov_b32 s17, s16
	v_mov_b64_e32 v[40:41], s[18:19]
	v_mov_b32_e32 v1, v34
	s_mov_b64 s[8:9], src_shared_base
	scratch_store_dwordx4 off, v[34:37], off offset:64
	scratch_store_dwordx4 off, v[0:3], off offset:124
	scratch_store_dword off, v34, off offset:140
	v_mov_b64_e32 v[38:39], s[16:17]
	v_mov_b32_e32 v1, s9
	scratch_store_dwordx4 off, v[38:41], off offset:144
	scratch_store_dwordx4 off, v[38:41], off offset:160
	;; [unrolled: 1-line block ×16, first 2 shown]
	scratch_store_dwordx2 off, v[0:1], off offset:400
	scratch_store_byte off, v34, off offset:409
	v_mov_b32_e32 v0, 0x4000
	scratch_store_dwordx2 off, v[0:1], off offset:416
	scratch_store_byte off, v34, off offset:425
	v_mov_b32_e32 v0, 0x2000
	;; [unrolled: 3-line block ×3, first 2 shown]
	scratch_store_dwordx2 off, v[0:1], off offset:448
	scratch_store_byte off, v34, off offset:457
	s_mov_b32 s11, 0x20000
	s_mov_b32 s8, s20
	;; [unrolled: 1-line block ×3, first 2 shown]
	v_add_u32_e32 v1, s30, v4
	buffer_load_dword v2, v4, s[8:11], 0 offen
	buffer_load_dword v3, v1, s[8:11], 0 offen
	s_mul_i32 s0, s0, s27
	s_mul_i32 s13, s13, s25
	s_sub_i32 s0, s2, s0
	s_sub_i32 s2, s12, s13
	v_add_u32_e32 v0, s30, v1
	v_add_u32_e32 v5, s30, v0
	buffer_load_dword v8, v0, s[8:11], 0 offen
	buffer_load_dword v9, v5, s[8:11], 0 offen
	s_mul_i32 s2, s2, s7
	s_add_i32 s0, s0, s2
	s_lshl_b32 s2, s30, 2
	v_add_u32_e32 v5, s2, v5
	v_add_u32_e32 v0, s2, v0
	buffer_load_dword v10, v5, s[8:11], 0 offen
	buffer_load_dword v11, v0, s[8:11], 0 offen
	s_lshl_b32 s17, s0, 7
	v_add_u32_e32 v1, s2, v1
	v_or_b32_e32 v0, s17, v44
	v_add_u32_e32 v4, s2, v4
	buffer_load_dword v5, v1, s[8:11], 0 offen
	buffer_load_dword v12, v4, s[8:11], 0 offen
	v_mad_u64_u32 v[0:1], s[2:3], s31, v7, v[0:1]
	s_mov_b32 s12, s22
	s_mov_b32 s13, s23
	;; [unrolled: 1-line block ×3, first 2 shown]
	v_add_u32_e32 v1, s31, v0
	buffer_load_dword v4, v0, s[12:15], 0 offen
	buffer_load_dword v13, v1, s[12:15], 0 offen
	v_add_u32_e32 v14, s31, v1
	v_add_u32_e32 v15, s31, v14
	buffer_load_dword v16, v14, s[12:15], 0 offen
	buffer_load_dword v17, v15, s[12:15], 0 offen
	s_lshl_b32 s0, s31, 2
	v_add_u32_e32 v15, s0, v15
	v_add_u32_e32 v14, s0, v14
	buffer_load_dword v18, v15, s[12:15], 0 offen
	buffer_load_dword v19, v14, s[12:15], 0 offen
	v_add_u32_e32 v1, s0, v1
	v_add_u32_e32 v0, s0, v0
	buffer_load_dword v14, v1, s[12:15], 0 offen
	buffer_load_dword v15, v0, s[12:15], 0 offen
	s_movk_i32 s34, 0xff00
	v_lshlrev_b32_e32 v0, 2, v44
	s_movk_i32 s33, 0xff
	v_mov_b32_e32 v36, 8
	v_lshl_or_b32 v42, v6, 9, v0
	s_mov_b64 s[2:3], src_private_base
	s_mov_b32 s22, 64
	s_movk_i32 s2, 0x90
	s_mov_b32 s7, s3
	s_movk_i32 s23, 0x190
	;; [unrolled: 2-line block ×5, first 2 shown]
	s_mov_b32 s29, s3
	s_mov_b32 s35, 0
	;; [unrolled: 1-line block ×5, first 2 shown]
	s_sub_i32 s39, s39, 32
	s_lshl_b32 s40, s31, 7
	s_lshl_b32 s41, s30, 7
	s_movk_i32 s32, 0x1e0
	s_waitcnt vmcnt(15)
	v_and_b32_sdwa v0, v2, s33 dst_sel:DWORD dst_unused:UNUSED_PAD src0_sel:WORD_1 src1_sel:DWORD
	s_waitcnt vmcnt(14)
	v_and_b32_sdwa v1, v3, s34 dst_sel:DWORD dst_unused:UNUSED_PAD src0_sel:WORD_1 src1_sel:DWORD
	v_or_b32_sdwa v6, v2, v1 dst_sel:DWORD dst_unused:UNUSED_PAD src0_sel:BYTE_3 src1_sel:DWORD
	v_lshlrev_b16_sdwa v1, v36, v3 dst_sel:DWORD dst_unused:UNUSED_PAD src0_sel:DWORD src1_sel:WORD_1
	v_or_b32_e32 v20, v0, v1
	v_and_b32_e32 v0, 0xffffff00, v3
	v_or_b32_sdwa v1, v2, v0 dst_sel:DWORD dst_unused:UNUSED_PAD src0_sel:BYTE_1 src1_sel:DWORD
	s_waitcnt vmcnt(13)
	v_and_b32_sdwa v0, v8, s33 dst_sel:DWORD dst_unused:UNUSED_PAD src0_sel:WORD_1 src1_sel:DWORD
	s_waitcnt vmcnt(12)
	v_lshlrev_b16_sdwa v22, v36, v9 dst_sel:DWORD dst_unused:UNUSED_PAD src0_sel:DWORD src1_sel:WORD_1
	v_or_b32_sdwa v22, v0, v22 dst_sel:WORD_1 dst_unused:UNUSED_PAD src0_sel:DWORD src1_sel:DWORD
	v_and_b32_e32 v0, 0xffffff00, v9
	v_or_b32_sdwa v23, v8, v0 dst_sel:WORD_1 dst_unused:UNUSED_PAD src0_sel:BYTE_1 src1_sel:DWORD
	v_and_b32_sdwa v21, v9, s34 dst_sel:DWORD dst_unused:UNUSED_PAD src0_sel:WORD_1 src1_sel:DWORD
	s_waitcnt vmcnt(11)
	v_and_b32_sdwa v0, v10, s34 dst_sel:DWORD dst_unused:UNUSED_PAD src0_sel:WORD_1 src1_sel:DWORD
	s_waitcnt vmcnt(10)
	v_or_b32_sdwa v24, v11, v0 dst_sel:WORD_1 dst_unused:UNUSED_PAD src0_sel:BYTE_3 src1_sel:DWORD
	v_lshlrev_b16_sdwa v0, v36, v10 dst_sel:DWORD dst_unused:UNUSED_PAD src0_sel:DWORD src1_sel:WORD_1
	v_and_b32_sdwa v25, v11, s33 dst_sel:DWORD dst_unused:UNUSED_PAD src0_sel:WORD_1 src1_sel:DWORD
	v_or_b32_sdwa v25, v25, v0 dst_sel:WORD_1 dst_unused:UNUSED_PAD src0_sel:DWORD src1_sel:DWORD
	v_and_b32_e32 v0, 0xffffff00, v10
	v_or_b32_sdwa v26, v11, v0 dst_sel:WORD_1 dst_unused:UNUSED_PAD src0_sel:BYTE_1 src1_sel:DWORD
	s_waitcnt vmcnt(9)
	v_and_b32_sdwa v0, v5, s34 dst_sel:DWORD dst_unused:UNUSED_PAD src0_sel:WORD_1 src1_sel:DWORD
	s_waitcnt vmcnt(8)
	v_or_b32_sdwa v27, v12, v0 dst_sel:DWORD dst_unused:UNUSED_PAD src0_sel:BYTE_3 src1_sel:DWORD
	v_lshlrev_b16_sdwa v0, v36, v5 dst_sel:DWORD dst_unused:UNUSED_PAD src0_sel:DWORD src1_sel:WORD_1
	v_and_b32_sdwa v28, v12, s33 dst_sel:DWORD dst_unused:UNUSED_PAD src0_sel:WORD_1 src1_sel:DWORD
	v_or_b32_e32 v28, v28, v0
	v_and_b32_e32 v0, 0xffffff00, v5
	v_or_b32_sdwa v29, v12, v0 dst_sel:DWORD dst_unused:UNUSED_PAD src0_sel:BYTE_1 src1_sel:DWORD
	s_waitcnt vmcnt(7)
	v_and_b32_sdwa v0, v4, s33 dst_sel:DWORD dst_unused:UNUSED_PAD src0_sel:WORD_1 src1_sel:DWORD
	s_waitcnt vmcnt(6)
	v_lshlrev_b16_sdwa v31, v36, v13 dst_sel:DWORD dst_unused:UNUSED_PAD src0_sel:DWORD src1_sel:WORD_1
	v_or_b32_e32 v31, v0, v31
	v_and_b32_e32 v0, 0xffffff00, v13
	v_or_b32_sdwa v32, v4, v0 dst_sel:DWORD dst_unused:UNUSED_PAD src0_sel:BYTE_1 src1_sel:DWORD
	s_waitcnt vmcnt(5)
	v_and_b32_sdwa v0, v16, s33 dst_sel:DWORD dst_unused:UNUSED_PAD src0_sel:WORD_1 src1_sel:DWORD
	s_waitcnt vmcnt(4)
	v_lshlrev_b16_sdwa v43, v36, v17 dst_sel:DWORD dst_unused:UNUSED_PAD src0_sel:DWORD src1_sel:WORD_1
	v_or_b32_sdwa v45, v0, v43 dst_sel:WORD_1 dst_unused:UNUSED_PAD src0_sel:DWORD src1_sel:DWORD
	v_and_b32_e32 v0, 0xffffff00, v17
	v_or_b32_sdwa v46, v16, v0 dst_sel:WORD_1 dst_unused:UNUSED_PAD src0_sel:BYTE_1 src1_sel:DWORD
	s_waitcnt vmcnt(3)
	v_and_b32_sdwa v0, v18, s34 dst_sel:DWORD dst_unused:UNUSED_PAD src0_sel:WORD_1 src1_sel:DWORD
	s_waitcnt vmcnt(2)
	v_or_b32_sdwa v47, v19, v0 dst_sel:WORD_1 dst_unused:UNUSED_PAD src0_sel:BYTE_3 src1_sel:DWORD
	v_lshlrev_b16_sdwa v0, v36, v18 dst_sel:DWORD dst_unused:UNUSED_PAD src0_sel:DWORD src1_sel:WORD_1
	v_and_b32_sdwa v43, v19, s33 dst_sel:DWORD dst_unused:UNUSED_PAD src0_sel:WORD_1 src1_sel:DWORD
	v_or_b32_sdwa v48, v43, v0 dst_sel:WORD_1 dst_unused:UNUSED_PAD src0_sel:DWORD src1_sel:DWORD
	v_and_b32_e32 v0, 0xffffff00, v18
	v_or_b32_sdwa v49, v19, v0 dst_sel:WORD_1 dst_unused:UNUSED_PAD src0_sel:BYTE_1 src1_sel:DWORD
	s_waitcnt vmcnt(1)
	v_and_b32_sdwa v0, v14, s34 dst_sel:DWORD dst_unused:UNUSED_PAD src0_sel:WORD_1 src1_sel:DWORD
	s_waitcnt vmcnt(0)
	v_or_b32_sdwa v50, v15, v0 dst_sel:DWORD dst_unused:UNUSED_PAD src0_sel:BYTE_3 src1_sel:DWORD
	v_lshlrev_b16_sdwa v0, v36, v14 dst_sel:DWORD dst_unused:UNUSED_PAD src0_sel:DWORD src1_sel:WORD_1
	v_and_b32_sdwa v43, v15, s33 dst_sel:DWORD dst_unused:UNUSED_PAD src0_sel:WORD_1 src1_sel:DWORD
	v_or_b32_e32 v51, v43, v0
	v_and_b32_e32 v0, 0xffffff00, v14
	v_or_b32_sdwa v52, v15, v0 dst_sel:DWORD dst_unused:UNUSED_PAD src0_sel:BYTE_1 src1_sel:DWORD
	v_lshlrev_b16_e32 v0, 8, v3
	v_or_b32_sdwa v0, v2, v0 dst_sel:DWORD dst_unused:UNUSED_PAD src0_sel:BYTE_0 src1_sel:DWORD
	v_lshlrev_b16_e32 v2, 8, v9
	v_or_b32_sdwa v21, v8, v21 dst_sel:WORD_1 dst_unused:UNUSED_PAD src0_sel:BYTE_3 src1_sel:DWORD
	v_or_b32_sdwa v2, v8, v2 dst_sel:WORD_1 dst_unused:UNUSED_PAD src0_sel:BYTE_0 src1_sel:DWORD
	v_or_b32_sdwa v1, v1, v23 dst_sel:DWORD dst_unused:UNUSED_PAD src0_sel:WORD_0 src1_sel:DWORD
	v_or_b32_sdwa v0, v0, v2 dst_sel:DWORD dst_unused:UNUSED_PAD src0_sel:WORD_0 src1_sel:DWORD
	;; [unrolled: 1-line block ×4, first 2 shown]
	ds_write_b128 v42, v[0:3]
	v_lshlrev_b16_e32 v0, 8, v5
	v_lshlrev_b16_e32 v1, 8, v10
	v_or_b32_sdwa v0, v12, v0 dst_sel:DWORD dst_unused:UNUSED_PAD src0_sel:BYTE_0 src1_sel:DWORD
	v_or_b32_sdwa v1, v11, v1 dst_sel:WORD_1 dst_unused:UNUSED_PAD src0_sel:BYTE_0 src1_sel:DWORD
	v_or_b32_sdwa v2, v28, v25 dst_sel:DWORD dst_unused:UNUSED_PAD src0_sel:WORD_0 src1_sel:DWORD
	v_or_b32_sdwa v0, v0, v1 dst_sel:DWORD dst_unused:UNUSED_PAD src0_sel:WORD_0 src1_sel:DWORD
	;; [unrolled: 1-line block ×4, first 2 shown]
	v_and_b32_sdwa v30, v13, s34 dst_sel:DWORD dst_unused:UNUSED_PAD src0_sel:WORD_1 src1_sel:DWORD
	v_and_b32_sdwa v33, v17, s34 dst_sel:DWORD dst_unused:UNUSED_PAD src0_sel:WORD_1 src1_sel:DWORD
	ds_write_b128 v42, v[0:3] offset:512
	v_lshlrev_b16_e32 v0, 8, v13
	v_lshlrev_b16_e32 v1, 8, v17
	v_or_b32_sdwa v30, v4, v30 dst_sel:DWORD dst_unused:UNUSED_PAD src0_sel:BYTE_3 src1_sel:DWORD
	v_or_b32_sdwa v33, v16, v33 dst_sel:WORD_1 dst_unused:UNUSED_PAD src0_sel:BYTE_3 src1_sel:DWORD
	v_or_b32_sdwa v0, v4, v0 dst_sel:DWORD dst_unused:UNUSED_PAD src0_sel:BYTE_0 src1_sel:DWORD
	v_or_b32_sdwa v1, v16, v1 dst_sel:WORD_1 dst_unused:UNUSED_PAD src0_sel:BYTE_0 src1_sel:DWORD
	v_or_b32_sdwa v2, v31, v45 dst_sel:DWORD dst_unused:UNUSED_PAD src0_sel:WORD_0 src1_sel:DWORD
	v_or_b32_sdwa v0, v0, v1 dst_sel:DWORD dst_unused:UNUSED_PAD src0_sel:WORD_0 src1_sel:DWORD
	;; [unrolled: 1-line block ×4, first 2 shown]
	ds_write_b128 v42, v[0:3] offset:16384
	v_lshlrev_b16_e32 v0, 8, v14
	v_lshlrev_b16_e32 v1, 8, v18
	v_or_b32_sdwa v0, v15, v0 dst_sel:DWORD dst_unused:UNUSED_PAD src0_sel:BYTE_0 src1_sel:DWORD
	v_or_b32_sdwa v1, v19, v1 dst_sel:WORD_1 dst_unused:UNUSED_PAD src0_sel:BYTE_0 src1_sel:DWORD
	v_or_b32_sdwa v2, v51, v48 dst_sel:DWORD dst_unused:UNUSED_PAD src0_sel:WORD_0 src1_sel:DWORD
	v_or_b32_sdwa v0, v0, v1 dst_sel:DWORD dst_unused:UNUSED_PAD src0_sel:WORD_0 src1_sel:DWORD
	;; [unrolled: 1-line block ×4, first 2 shown]
	ds_write_b128 v42, v[0:3] offset:16896
	v_or_b32_e32 v0, 0x84, v7
	v_mul_lo_u32 v1, s31, v0
	v_mov_b32_e32 v43, v34
	v_add_u32_e32 v34, s17, v1
	v_or_b32_e32 v1, 0x85, v7
	v_mul_lo_u32 v2, s31, v1
	v_add_u32_e32 v45, s17, v2
	v_or_b32_e32 v2, 0x86, v7
	v_mul_lo_u32 v3, s31, v2
	;; [unrolled: 3-line block ×7, first 2 shown]
	v_mul_lo_u32 v0, s30, v0
	v_add_u32_e32 v51, s17, v9
	v_or_b32_e32 v9, 0x44, v7
	v_add_u32_e32 v60, s1, v0
	v_mul_lo_u32 v0, s30, v1
	v_mul_lo_u32 v10, s31, v9
	v_add_u32_e32 v61, s1, v0
	v_mul_lo_u32 v0, s30, v2
	v_add_u32_e32 v52, s17, v10
	v_or_b32_e32 v10, 0x45, v7
	v_add_u32_e32 v62, s1, v0
	v_mul_lo_u32 v0, s30, v3
	v_mul_lo_u32 v11, s31, v10
	v_add_u32_e32 v63, s1, v0
	;; [unrolled: 7-line block ×6, first 2 shown]
	v_mul_lo_u32 v0, s30, v13
	v_add_u32_e32 v57, s17, v15
	v_or_b32_e32 v15, 0x41, v7
	v_add_u32_e32 v72, s1, v0
	v_mul_lo_u32 v0, s30, v14
	v_mul_lo_u32 v16, s31, v15
	v_or_b32_e32 v7, 64, v7
	v_add_u32_e32 v73, s1, v0
	v_mul_lo_u32 v0, s30, v15
	v_add_u32_e32 v58, s17, v16
	v_mul_lo_u32 v16, s31, v7
	;; [unrolled: 2-line block ×3, first 2 shown]
	v_add_u32_e32 v59, s17, v16
	v_add_u32_e32 v75, s1, v0
.LBB3_1:                                ; =>This Inner Loop Header: Depth=1
	v_add_u32_e32 v0, v44, v75
	v_add_u32_e32 v2, v44, v74
	;; [unrolled: 1-line block ×9, first 2 shown]
	buffer_load_dword v96, v0, s[8:11], 0 offen
	buffer_load_dword v97, v2, s[8:11], 0 offen
	;; [unrolled: 1-line block ×8, first 2 shown]
	v_add_u32_e32 v0, v44, v58
	v_add_u32_e32 v2, v44, v57
	;; [unrolled: 1-line block ×7, first 2 shown]
	buffer_load_dword v76, v1, s[12:15], 0 offen
	buffer_load_dword v104, v0, s[12:15], 0 offen
	;; [unrolled: 1-line block ×8, first 2 shown]
	s_waitcnt lgkmcnt(0)
	s_barrier
	scratch_load_dword v0, off, off offset:80
	scratch_load_dwordx2 v[2:3], off, off offset:400
	s_nop 0
	scratch_store_dwordx4 off, v[38:41], off
	scratch_store_dwordx4 off, v[38:41], off offset:16
	scratch_store_dwordx4 off, v[38:41], off offset:32
	;; [unrolled: 1-line block ×3, first 2 shown]
	scratch_load_dword v4, off, off offset:112
	scratch_load_dwordx2 v[6:7], off, off offset:416
	s_getpc_b64 s[18:19]
	s_add_u32 s18, s18, _ZNK2ck6detail15static_for_implINS_8SequenceIJLi1ELi2ELi3ELi4ELi5ELi6ELi7ELi8ELi9ELi10ELi11ELi12ELi13ELi14ELi15EEEEEclIZNKS_80BlockwiseGemmDl_A_BK0_BM_BK1_B_BK0_BN_BK1_C_BM0_BM1_BN0_BN1_pipeline_BM0_2_BN0_2ILi256EaaiKNS_16TensorDescriptorINS_5TupleIJNS_5EmbedINS8_IJNS_17integral_constantIiLi16EEENSA_IiLi128EEENSA_IiLi4EEEEEENS8_IJNSA_IiLi512EEESD_NSA_IiLi1EEEEEELb0EEEEEENS8_IJNS2_IJLi0EEEEEEENS8_IJNS2_IJLi1ELi2ELi3EEEEEEESM_NSA_IlLl8192EEEEESQ_Li4ELi4ELi1ENS2_IJLi8ELi2EEEESR_Li4ELi4ELb0EE3RunINS7_INS8_IJNS_7UnMergeINS8_IJNSA_IiLi2EEESD_SV_SD_EEELb0EEEEEESL_NS8_IJNS2_IJLi1ELi2ELi3ELi4EEEEEEESZ_NSA_IlLl64EEEEENS_13DynamicBufferILNS_16AddressSpaceEnumE2EaSO_Lb1ELNS_22AmdBufferCoherenceEnumE0EiEES16_NS_12StaticBufferILS14_4EiLi64ELb1EEEEEvRKT_RKT0_RKT1_RT2_EUlS19_E_EEvS19_@rel32@lo+4
	s_addc_u32 s19, s19, _ZNK2ck6detail15static_for_implINS_8SequenceIJLi1ELi2ELi3ELi4ELi5ELi6ELi7ELi8ELi9ELi10ELi11ELi12ELi13ELi14ELi15EEEEEclIZNKS_80BlockwiseGemmDl_A_BK0_BM_BK1_B_BK0_BN_BK1_C_BM0_BM1_BN0_BN1_pipeline_BM0_2_BN0_2ILi256EaaiKNS_16TensorDescriptorINS_5TupleIJNS_5EmbedINS8_IJNS_17integral_constantIiLi16EEENSA_IiLi128EEENSA_IiLi4EEEEEENS8_IJNSA_IiLi512EEESD_NSA_IiLi1EEEEEELb0EEEEEENS8_IJNS2_IJLi0EEEEEEENS8_IJNS2_IJLi1ELi2ELi3EEEEEEESM_NSA_IlLl8192EEEEESQ_Li4ELi4ELi1ENS2_IJLi8ELi2EEEESR_Li4ELi4ELb0EE3RunINS7_INS8_IJNS_7UnMergeINS8_IJNSA_IiLi2EEESD_SV_SD_EEELb0EEEEEESL_NS8_IJNS2_IJLi1ELi2ELi3ELi4EEEEEEESZ_NSA_IlLl64EEEEENS_13DynamicBufferILNS_16AddressSpaceEnumE2EaSO_Lb1ELNS_22AmdBufferCoherenceEnumE0EiEES16_NS_12StaticBufferILS14_4EiLi64ELb1EEEEEvRKT_RKT0_RKT1_RT2_EUlS19_E_EEvS19_@rel32@hi+12
	s_waitcnt vmcnt(0)
	v_and_b32_sdwa v108, v96, s33 dst_sel:DWORD dst_unused:UNUSED_PAD src0_sel:WORD_1 src1_sel:DWORD
	s_waitcnt vmcnt(22)
	v_and_b32_sdwa v109, v97, s34 dst_sel:DWORD dst_unused:UNUSED_PAD src0_sel:WORD_1 src1_sel:DWORD
	v_lshlrev_b16_sdwa v110, v36, v97 dst_sel:DWORD dst_unused:UNUSED_PAD src0_sel:DWORD src1_sel:WORD_1
	v_and_b32_e32 v111, 0xffffff00, v97
	s_waitcnt vmcnt(21)
	v_and_b32_sdwa v112, v100, s33 dst_sel:DWORD dst_unused:UNUSED_PAD src0_sel:WORD_1 src1_sel:DWORD
	s_waitcnt vmcnt(20)
	v_and_b32_sdwa v113, v98, s34 dst_sel:DWORD dst_unused:UNUSED_PAD src0_sel:WORD_1 src1_sel:DWORD
	v_lshlrev_b16_sdwa v114, v36, v98 dst_sel:DWORD dst_unused:UNUSED_PAD src0_sel:DWORD src1_sel:WORD_1
	v_and_b32_e32 v115, 0xffffff00, v98
	s_waitcnt vmcnt(19)
	v_and_b32_sdwa v116, v99, s34 dst_sel:DWORD dst_unused:UNUSED_PAD src0_sel:WORD_1 src1_sel:DWORD
	v_lshlrev_b16_sdwa v117, v36, v99 dst_sel:DWORD dst_unused:UNUSED_PAD src0_sel:DWORD src1_sel:WORD_1
	s_waitcnt vmcnt(18)
	v_and_b32_sdwa v118, v101, s33 dst_sel:DWORD dst_unused:UNUSED_PAD src0_sel:WORD_1 src1_sel:DWORD
	v_and_b32_e32 v119, 0xffffff00, v99
	s_waitcnt vmcnt(17)
	v_and_b32_sdwa v120, v102, s34 dst_sel:DWORD dst_unused:UNUSED_PAD src0_sel:WORD_1 src1_sel:DWORD
	v_lshlrev_b16_sdwa v121, v36, v102 dst_sel:DWORD dst_unused:UNUSED_PAD src0_sel:DWORD src1_sel:WORD_1
	s_waitcnt vmcnt(16)
	v_and_b32_sdwa v122, v103, s33 dst_sel:DWORD dst_unused:UNUSED_PAD src0_sel:WORD_1 src1_sel:DWORD
	v_and_b32_e32 v123, 0xffffff00, v102
	s_waitcnt vmcnt(15)
	v_and_b32_sdwa v124, v76, s33 dst_sel:DWORD dst_unused:UNUSED_PAD src0_sel:WORD_1 src1_sel:DWORD
	s_waitcnt vmcnt(7)
	v_ashrrev_i32_e32 v1, 31, v0
	s_waitcnt vmcnt(6)
	v_lshl_add_u64 v[32:33], v[2:3], 0, v[0:1]
	flat_load_dwordx4 v[0:3], v[32:33]
	s_waitcnt vmcnt(0)
	v_ashrrev_i32_e32 v5, 31, v4
	v_lshl_add_u64 v[8:9], v[6:7], 0, v[4:5]
	v_and_b32_e32 v125, 0xffffff00, v104
	v_and_b32_sdwa v126, v77, s33 dst_sel:DWORD dst_unused:UNUSED_PAD src0_sel:WORD_1 src1_sel:DWORD
	v_and_b32_sdwa v127, v105, s34 dst_sel:DWORD dst_unused:UNUSED_PAD src0_sel:WORD_1 src1_sel:DWORD
	v_lshlrev_b16_sdwa v128, v36, v105 dst_sel:DWORD dst_unused:UNUSED_PAD src0_sel:DWORD src1_sel:WORD_1
	v_and_b32_e32 v129, 0xffffff00, v105
	v_and_b32_sdwa v130, v106, s34 dst_sel:DWORD dst_unused:UNUSED_PAD src0_sel:WORD_1 src1_sel:DWORD
	v_lshlrev_b16_sdwa v131, v36, v106 dst_sel:DWORD dst_unused:UNUSED_PAD src0_sel:DWORD src1_sel:WORD_1
	v_and_b32_sdwa v132, v78, s33 dst_sel:DWORD dst_unused:UNUSED_PAD src0_sel:WORD_1 src1_sel:DWORD
	v_and_b32_e32 v133, 0xffffff00, v106
	v_and_b32_sdwa v134, v107, s34 dst_sel:DWORD dst_unused:UNUSED_PAD src0_sel:WORD_1 src1_sel:DWORD
	v_lshlrev_b16_sdwa v135, v36, v107 dst_sel:DWORD dst_unused:UNUSED_PAD src0_sel:DWORD src1_sel:WORD_1
	v_and_b32_sdwa v136, v79, s33 dst_sel:DWORD dst_unused:UNUSED_PAD src0_sel:WORD_1 src1_sel:DWORD
	v_and_b32_e32 v137, 0xffffff00, v107
	v_or_b32_sdwa v109, v96, v109 dst_sel:DWORD dst_unused:UNUSED_PAD src0_sel:BYTE_3 src1_sel:DWORD
	v_or_b32_e32 v108, v108, v110
	v_or_b32_sdwa v110, v96, v111 dst_sel:DWORD dst_unused:UNUSED_PAD src0_sel:BYTE_1 src1_sel:DWORD
	v_or_b32_sdwa v111, v100, v113 dst_sel:WORD_1 dst_unused:UNUSED_PAD src0_sel:BYTE_3 src1_sel:DWORD
	v_or_b32_sdwa v112, v112, v114 dst_sel:WORD_1 dst_unused:UNUSED_PAD src0_sel:DWORD src1_sel:DWORD
	v_or_b32_sdwa v113, v100, v115 dst_sel:WORD_1 dst_unused:UNUSED_PAD src0_sel:BYTE_1 src1_sel:DWORD
	v_or_b32_sdwa v114, v101, v116 dst_sel:WORD_1 dst_unused:UNUSED_PAD src0_sel:BYTE_3 src1_sel:DWORD
	v_or_b32_sdwa v115, v118, v117 dst_sel:WORD_1 dst_unused:UNUSED_PAD src0_sel:DWORD src1_sel:DWORD
	v_or_b32_sdwa v116, v101, v119 dst_sel:WORD_1 dst_unused:UNUSED_PAD src0_sel:BYTE_1 src1_sel:DWORD
	v_or_b32_sdwa v117, v103, v120 dst_sel:DWORD dst_unused:UNUSED_PAD src0_sel:BYTE_3 src1_sel:DWORD
	v_or_b32_e32 v118, v122, v121
	v_or_b32_sdwa v119, v103, v123 dst_sel:DWORD dst_unused:UNUSED_PAD src0_sel:BYTE_1 src1_sel:DWORD
	v_or_b32_sdwa v122, v76, v125 dst_sel:DWORD dst_unused:UNUSED_PAD src0_sel:BYTE_1 src1_sel:DWORD
	v_or_b32_sdwa v123, v77, v127 dst_sel:WORD_1 dst_unused:UNUSED_PAD src0_sel:BYTE_3 src1_sel:DWORD
	v_or_b32_sdwa v125, v77, v129 dst_sel:WORD_1 dst_unused:UNUSED_PAD src0_sel:BYTE_1 src1_sel:DWORD
	v_or_b32_sdwa v127, v132, v131 dst_sel:WORD_1 dst_unused:UNUSED_PAD src0_sel:DWORD src1_sel:DWORD
	v_or_b32_sdwa v129, v79, v134 dst_sel:DWORD dst_unused:UNUSED_PAD src0_sel:BYTE_3 src1_sel:DWORD
	v_or_b32_sdwa v131, v79, v137 dst_sel:DWORD dst_unused:UNUSED_PAD src0_sel:BYTE_1 src1_sel:DWORD
	s_waitcnt lgkmcnt(0)
	scratch_store_dwordx4 off, v[0:3], off
	flat_load_dwordx4 v[4:7], v[8:9]
	s_waitcnt vmcnt(0) lgkmcnt(0)
	scratch_store_dwordx4 off, v[4:7], off offset:32
	flat_load_dwordx4 v[8:11], v[8:9] offset:256
	s_nop 0
	scratch_load_dwordx4 v[12:15], off, off offset:144
	scratch_load_dwordx4 v[16:19], off, off offset:176
	;; [unrolled: 1-line block ×8, first 2 shown]
	s_waitcnt vmcnt(0)
	v_dot4c_i32_i8_e32 v12, v0, v4
	s_waitcnt lgkmcnt(0)
	scratch_store_dwordx4 off, v[8:11], off offset:48
	flat_load_dwordx4 v[92:95], v[32:33] offset:256
	v_and_b32_sdwa v32, v104, s34 dst_sel:DWORD dst_unused:UNUSED_PAD src0_sel:WORD_1 src1_sel:DWORD
	v_lshlrev_b16_sdwa v33, v36, v104 dst_sel:DWORD dst_unused:UNUSED_PAD src0_sel:DWORD src1_sel:WORD_1
	v_dot4c_i32_i8_e32 v13, v0, v5
	v_dot4c_i32_i8_e32 v14, v0, v6
	;; [unrolled: 1-line block ×31, first 2 shown]
	v_mov_b32_e32 v0, s22
	v_mov_b32_e32 v1, s3
	;; [unrolled: 1-line block ×12, first 2 shown]
	v_or_b32_sdwa v120, v76, v32 dst_sel:DWORD dst_unused:UNUSED_PAD src0_sel:BYTE_3 src1_sel:DWORD
	v_or_b32_e32 v121, v124, v33
	v_or_b32_sdwa v124, v126, v128 dst_sel:WORD_1 dst_unused:UNUSED_PAD src0_sel:DWORD src1_sel:DWORD
	v_or_b32_sdwa v126, v78, v130 dst_sel:WORD_1 dst_unused:UNUSED_PAD src0_sel:BYTE_3 src1_sel:DWORD
	v_or_b32_sdwa v128, v78, v133 dst_sel:WORD_1 dst_unused:UNUSED_PAD src0_sel:BYTE_1 src1_sel:DWORD
	v_or_b32_e32 v130, v136, v135
	scratch_store_dwordx4 off, v[12:15], off offset:144
	scratch_store_dwordx4 off, v[16:19], off offset:176
	scratch_store_dwordx4 off, v[20:23], off offset:208
	scratch_store_dwordx4 off, v[24:27], off offset:240
	scratch_store_dwordx4 off, v[28:31], off offset:160
	scratch_store_dwordx4 off, v[80:83], off offset:192
	scratch_store_dwordx4 off, v[84:87], off offset:224
	scratch_store_dwordx4 off, v[88:91], off offset:256
	s_waitcnt vmcnt(0) lgkmcnt(0)
	scratch_store_dwordx4 off, v[92:95], off offset:16
	s_swappc_b64 s[30:31], s[18:19]
	scratch_load_dword v132, off, off offset:16
	scratch_load_dword v133, off, off offset:32
	scratch_load_dwordx4 v[0:3], off, off offset:272
	scratch_load_dwordx4 v[4:7], off, off offset:32
	;; [unrolled: 1-line block ×6, first 2 shown]
	scratch_load_dword v4, off, off offset:48
	scratch_load_dwordx4 v[24:27], off, off offset:288
	scratch_load_dwordx4 v[28:31], off, off offset:48
	;; [unrolled: 1-line block ×5, first 2 shown]
	scratch_load_dwordx2 v[32:33], off, off offset:432
	s_waitcnt vmcnt(10)
	v_lshlrev_b16_e32 v8, 8, v97
	s_waitcnt vmcnt(4)
	v_lshlrev_b16_e32 v28, 8, v98
	v_lshlrev_b16_e32 v92, 8, v102
	;; [unrolled: 1-line block ×3, first 2 shown]
	v_or_b32_sdwa v8, v96, v8 dst_sel:DWORD dst_unused:UNUSED_PAD src0_sel:BYTE_0 src1_sel:DWORD
	v_or_b32_sdwa v28, v100, v28 dst_sel:WORD_1 dst_unused:UNUSED_PAD src0_sel:BYTE_0 src1_sel:DWORD
	v_or_b32_sdwa v96, v103, v92 dst_sel:DWORD dst_unused:UNUSED_PAD src0_sel:BYTE_0 src1_sel:DWORD
	v_or_b32_sdwa v100, v101, v102 dst_sel:WORD_1 dst_unused:UNUSED_PAD src0_sel:BYTE_0 src1_sel:DWORD
	v_or_b32_sdwa v93, v110, v113 dst_sel:DWORD dst_unused:UNUSED_PAD src0_sel:WORD_0 src1_sel:DWORD
	v_or_b32_sdwa v94, v108, v112 dst_sel:DWORD dst_unused:UNUSED_PAD src0_sel:WORD_0 src1_sel:DWORD
	;; [unrolled: 1-line block ×8, first 2 shown]
	v_dot4c_i32_i8_e32 v0, v132, v133
	v_dot4c_i32_i8_e32 v1, v132, v5
	;; [unrolled: 1-line block ×20, first 2 shown]
	s_waitcnt vmcnt(3)
	v_dot4c_i32_i8_e32 v80, v9, v4
	v_dot4c_i32_i8_e32 v81, v9, v29
	v_dot4c_i32_i8_e32 v82, v9, v30
	v_dot4c_i32_i8_e32 v83, v9, v31
	s_waitcnt vmcnt(2)
	v_dot4c_i32_i8_e32 v84, v10, v4
	v_dot4c_i32_i8_e32 v85, v10, v29
	v_dot4c_i32_i8_e32 v86, v10, v30
	v_dot4c_i32_i8_e32 v87, v10, v31
	;; [unrolled: 5-line block ×3, first 2 shown]
	s_waitcnt vmcnt(0)
	v_lshl_add_u64 v[4:5], v[32:33], 0, v[42:43]
	scratch_store_dwordx4 off, v[0:3], off offset:272
	scratch_store_dwordx4 off, v[12:15], off offset:304
	;; [unrolled: 1-line block ×8, first 2 shown]
	flat_store_dwordx4 v[4:5], v[92:95]
	flat_store_dwordx4 v[4:5], v[96:99] offset:512
	scratch_load_dwordx2 v[8:9], off, off offset:448
	v_lshlrev_b16_e32 v0, 8, v104
	v_lshlrev_b16_e32 v4, 8, v105
	;; [unrolled: 1-line block ×4, first 2 shown]
	v_or_b32_sdwa v0, v76, v0 dst_sel:DWORD dst_unused:UNUSED_PAD src0_sel:BYTE_0 src1_sel:DWORD
	v_or_b32_sdwa v4, v77, v4 dst_sel:WORD_1 dst_unused:UNUSED_PAD src0_sel:BYTE_0 src1_sel:DWORD
	v_or_b32_sdwa v10, v79, v10 dst_sel:DWORD dst_unused:UNUSED_PAD src0_sel:BYTE_0 src1_sel:DWORD
	v_or_b32_sdwa v11, v78, v11 dst_sel:WORD_1 dst_unused:UNUSED_PAD src0_sel:BYTE_0 src1_sel:DWORD
	v_or_b32_sdwa v1, v122, v125 dst_sel:DWORD dst_unused:UNUSED_PAD src0_sel:WORD_0 src1_sel:DWORD
	v_or_b32_sdwa v2, v121, v124 dst_sel:DWORD dst_unused:UNUSED_PAD src0_sel:WORD_0 src1_sel:DWORD
	;; [unrolled: 1-line block ×8, first 2 shown]
	v_add_u32_e32 v12, v44, v67
	v_add_u32_e32 v13, v44, v51
	;; [unrolled: 1-line block ×16, first 2 shown]
	s_waitcnt vmcnt(0)
	v_lshl_add_u64 v[10:11], v[8:9], 0, v[42:43]
	flat_store_dwordx4 v[10:11], v[0:3]
	flat_store_dwordx4 v[10:11], v[4:7] offset:512
	buffer_load_dword v96, v12, s[8:11], 0 offen
	buffer_load_dword v97, v14, s[8:11], 0 offen
	;; [unrolled: 1-line block ×15, first 2 shown]
                                        ; kill: killed $vgpr18
                                        ; kill: killed $vgpr13
                                        ; kill: killed $vgpr21
                                        ; kill: killed $vgpr24
                                        ; kill: killed $vgpr16
                                        ; kill: killed $vgpr25
                                        ; kill: killed $vgpr19
                                        ; kill: killed $vgpr20
                                        ; kill: killed $vgpr15
                                        ; kill: killed $vgpr23
                                        ; kill: killed $vgpr12
                                        ; kill: killed $vgpr26
                                        ; kill: killed $vgpr22
                                        ; kill: killed $vgpr14
                                        ; kill: killed $vgpr17
	buffer_load_dword v79, v27, s[12:15], 0 offen
	s_waitcnt lgkmcnt(0)
	s_barrier
	scratch_load_dword v0, off, off offset:80
	s_nop 0
	scratch_store_dwordx4 off, v[38:41], off
	scratch_store_dwordx4 off, v[38:41], off offset:16
	scratch_store_dwordx4 off, v[38:41], off offset:32
	;; [unrolled: 1-line block ×3, first 2 shown]
	scratch_load_dword v4, off, off offset:112
	s_waitcnt vmcnt(0)
	v_and_b32_sdwa v108, v96, s33 dst_sel:DWORD dst_unused:UNUSED_PAD src0_sel:WORD_1 src1_sel:DWORD
	v_and_b32_sdwa v109, v97, s34 dst_sel:DWORD dst_unused:UNUSED_PAD src0_sel:WORD_1 src1_sel:DWORD
	v_lshlrev_b16_sdwa v110, v36, v97 dst_sel:DWORD dst_unused:UNUSED_PAD src0_sel:DWORD src1_sel:WORD_1
	v_and_b32_e32 v111, 0xffffff00, v97
	v_and_b32_sdwa v112, v100, s33 dst_sel:DWORD dst_unused:UNUSED_PAD src0_sel:WORD_1 src1_sel:DWORD
	v_and_b32_sdwa v113, v98, s34 dst_sel:DWORD dst_unused:UNUSED_PAD src0_sel:WORD_1 src1_sel:DWORD
	v_lshlrev_b16_sdwa v114, v36, v98 dst_sel:DWORD dst_unused:UNUSED_PAD src0_sel:DWORD src1_sel:WORD_1
	v_and_b32_e32 v115, 0xffffff00, v98
	v_and_b32_sdwa v116, v99, s34 dst_sel:DWORD dst_unused:UNUSED_PAD src0_sel:WORD_1 src1_sel:DWORD
	v_lshlrev_b16_sdwa v117, v36, v99 dst_sel:DWORD dst_unused:UNUSED_PAD src0_sel:DWORD src1_sel:WORD_1
	v_and_b32_sdwa v118, v101, s33 dst_sel:DWORD dst_unused:UNUSED_PAD src0_sel:WORD_1 src1_sel:DWORD
	v_and_b32_e32 v119, 0xffffff00, v99
	v_and_b32_sdwa v120, v102, s34 dst_sel:DWORD dst_unused:UNUSED_PAD src0_sel:WORD_1 src1_sel:DWORD
	v_lshlrev_b16_sdwa v121, v36, v102 dst_sel:DWORD dst_unused:UNUSED_PAD src0_sel:DWORD src1_sel:WORD_1
	v_and_b32_sdwa v122, v103, s33 dst_sel:DWORD dst_unused:UNUSED_PAD src0_sel:WORD_1 src1_sel:DWORD
	v_and_b32_e32 v123, 0xffffff00, v102
	v_and_b32_sdwa v124, v76, s33 dst_sel:DWORD dst_unused:UNUSED_PAD src0_sel:WORD_1 src1_sel:DWORD
	v_and_b32_e32 v125, 0xffffff00, v104
	v_and_b32_sdwa v126, v77, s33 dst_sel:DWORD dst_unused:UNUSED_PAD src0_sel:WORD_1 src1_sel:DWORD
	v_and_b32_sdwa v127, v105, s34 dst_sel:DWORD dst_unused:UNUSED_PAD src0_sel:WORD_1 src1_sel:DWORD
	v_lshlrev_b16_sdwa v128, v36, v105 dst_sel:DWORD dst_unused:UNUSED_PAD src0_sel:DWORD src1_sel:WORD_1
	v_and_b32_e32 v129, 0xffffff00, v105
	v_and_b32_sdwa v130, v106, s34 dst_sel:DWORD dst_unused:UNUSED_PAD src0_sel:WORD_1 src1_sel:DWORD
	v_lshlrev_b16_sdwa v131, v36, v106 dst_sel:DWORD dst_unused:UNUSED_PAD src0_sel:DWORD src1_sel:WORD_1
	v_and_b32_sdwa v132, v78, s33 dst_sel:DWORD dst_unused:UNUSED_PAD src0_sel:WORD_1 src1_sel:DWORD
	v_and_b32_e32 v133, 0xffffff00, v106
	v_and_b32_sdwa v134, v107, s34 dst_sel:DWORD dst_unused:UNUSED_PAD src0_sel:WORD_1 src1_sel:DWORD
	v_lshlrev_b16_sdwa v135, v36, v107 dst_sel:DWORD dst_unused:UNUSED_PAD src0_sel:DWORD src1_sel:WORD_1
	v_and_b32_e32 v137, 0xffffff00, v107
	v_or_b32_sdwa v109, v96, v109 dst_sel:DWORD dst_unused:UNUSED_PAD src0_sel:BYTE_3 src1_sel:DWORD
	v_and_b32_sdwa v136, v79, s33 dst_sel:DWORD dst_unused:UNUSED_PAD src0_sel:WORD_1 src1_sel:DWORD
	v_or_b32_e32 v108, v108, v110
	v_or_b32_sdwa v110, v96, v111 dst_sel:DWORD dst_unused:UNUSED_PAD src0_sel:BYTE_1 src1_sel:DWORD
	v_ashrrev_i32_e32 v1, 31, v0
	v_lshl_add_u64 v[32:33], v[32:33], 0, v[0:1]
	flat_load_dwordx4 v[0:3], v[32:33]
	v_ashrrev_i32_e32 v5, 31, v4
	v_lshl_add_u64 v[8:9], v[8:9], 0, v[4:5]
	v_or_b32_sdwa v111, v100, v113 dst_sel:WORD_1 dst_unused:UNUSED_PAD src0_sel:BYTE_3 src1_sel:DWORD
	v_or_b32_sdwa v112, v112, v114 dst_sel:WORD_1 dst_unused:UNUSED_PAD src0_sel:DWORD src1_sel:DWORD
	v_or_b32_sdwa v113, v100, v115 dst_sel:WORD_1 dst_unused:UNUSED_PAD src0_sel:BYTE_1 src1_sel:DWORD
	v_or_b32_sdwa v114, v101, v116 dst_sel:WORD_1 dst_unused:UNUSED_PAD src0_sel:BYTE_3 src1_sel:DWORD
	v_or_b32_sdwa v115, v118, v117 dst_sel:WORD_1 dst_unused:UNUSED_PAD src0_sel:DWORD src1_sel:DWORD
	v_or_b32_sdwa v116, v101, v119 dst_sel:WORD_1 dst_unused:UNUSED_PAD src0_sel:BYTE_1 src1_sel:DWORD
	v_or_b32_sdwa v117, v103, v120 dst_sel:DWORD dst_unused:UNUSED_PAD src0_sel:BYTE_3 src1_sel:DWORD
	v_or_b32_e32 v118, v122, v121
	v_or_b32_sdwa v119, v103, v123 dst_sel:DWORD dst_unused:UNUSED_PAD src0_sel:BYTE_1 src1_sel:DWORD
	v_or_b32_sdwa v122, v76, v125 dst_sel:DWORD dst_unused:UNUSED_PAD src0_sel:BYTE_1 src1_sel:DWORD
	v_or_b32_sdwa v123, v77, v127 dst_sel:WORD_1 dst_unused:UNUSED_PAD src0_sel:BYTE_3 src1_sel:DWORD
	v_or_b32_sdwa v125, v77, v129 dst_sel:WORD_1 dst_unused:UNUSED_PAD src0_sel:BYTE_1 src1_sel:DWORD
	v_or_b32_sdwa v127, v132, v131 dst_sel:WORD_1 dst_unused:UNUSED_PAD src0_sel:DWORD src1_sel:DWORD
	v_or_b32_sdwa v129, v79, v134 dst_sel:DWORD dst_unused:UNUSED_PAD src0_sel:BYTE_3 src1_sel:DWORD
	v_or_b32_sdwa v131, v79, v137 dst_sel:DWORD dst_unused:UNUSED_PAD src0_sel:BYTE_1 src1_sel:DWORD
	s_waitcnt vmcnt(0) lgkmcnt(0)
	scratch_store_dwordx4 off, v[0:3], off
	flat_load_dwordx4 v[4:7], v[8:9]
	s_waitcnt vmcnt(0) lgkmcnt(0)
	scratch_store_dwordx4 off, v[4:7], off offset:32
	flat_load_dwordx4 v[8:11], v[8:9] offset:256
	s_nop 0
	scratch_load_dwordx4 v[12:15], off, off offset:144
	scratch_load_dwordx4 v[16:19], off, off offset:176
	;; [unrolled: 1-line block ×8, first 2 shown]
	s_waitcnt vmcnt(0)
	v_dot4c_i32_i8_e32 v12, v0, v4
	s_waitcnt lgkmcnt(0)
	scratch_store_dwordx4 off, v[8:11], off offset:48
	flat_load_dwordx4 v[92:95], v[32:33] offset:256
	v_and_b32_sdwa v32, v104, s34 dst_sel:DWORD dst_unused:UNUSED_PAD src0_sel:WORD_1 src1_sel:DWORD
	v_lshlrev_b16_sdwa v33, v36, v104 dst_sel:DWORD dst_unused:UNUSED_PAD src0_sel:DWORD src1_sel:WORD_1
	v_dot4c_i32_i8_e32 v13, v0, v5
	v_dot4c_i32_i8_e32 v14, v0, v6
	;; [unrolled: 1-line block ×31, first 2 shown]
	v_mov_b32_e32 v0, s22
	v_mov_b32_e32 v1, s3
	;; [unrolled: 1-line block ×12, first 2 shown]
	v_or_b32_sdwa v120, v76, v32 dst_sel:DWORD dst_unused:UNUSED_PAD src0_sel:BYTE_3 src1_sel:DWORD
	v_or_b32_e32 v121, v124, v33
	v_or_b32_sdwa v124, v126, v128 dst_sel:WORD_1 dst_unused:UNUSED_PAD src0_sel:DWORD src1_sel:DWORD
	v_or_b32_sdwa v126, v78, v130 dst_sel:WORD_1 dst_unused:UNUSED_PAD src0_sel:BYTE_3 src1_sel:DWORD
	v_or_b32_sdwa v128, v78, v133 dst_sel:WORD_1 dst_unused:UNUSED_PAD src0_sel:BYTE_1 src1_sel:DWORD
	v_or_b32_e32 v130, v136, v135
	scratch_store_dwordx4 off, v[12:15], off offset:144
	scratch_store_dwordx4 off, v[16:19], off offset:176
	;; [unrolled: 1-line block ×8, first 2 shown]
	s_waitcnt vmcnt(0) lgkmcnt(0)
	scratch_store_dwordx4 off, v[92:95], off offset:16
	s_swappc_b64 s[30:31], s[18:19]
	scratch_load_dword v132, off, off offset:16
	scratch_load_dword v133, off, off offset:32
	scratch_load_dwordx4 v[0:3], off, off offset:272
	scratch_load_dwordx4 v[4:7], off, off offset:32
	;; [unrolled: 1-line block ×6, first 2 shown]
	scratch_load_dword v4, off, off offset:48
	scratch_load_dwordx4 v[24:27], off, off offset:288
	scratch_load_dwordx4 v[28:31], off, off offset:48
	;; [unrolled: 1-line block ×5, first 2 shown]
	scratch_load_dwordx2 v[32:33], off, off offset:400
	s_waitcnt vmcnt(10)
	v_lshlrev_b16_e32 v8, 8, v97
	s_waitcnt vmcnt(4)
	v_lshlrev_b16_e32 v28, 8, v98
	v_lshlrev_b16_e32 v92, 8, v102
	;; [unrolled: 1-line block ×3, first 2 shown]
	v_or_b32_sdwa v8, v96, v8 dst_sel:DWORD dst_unused:UNUSED_PAD src0_sel:BYTE_0 src1_sel:DWORD
	v_or_b32_sdwa v28, v100, v28 dst_sel:WORD_1 dst_unused:UNUSED_PAD src0_sel:BYTE_0 src1_sel:DWORD
	v_or_b32_sdwa v96, v103, v92 dst_sel:DWORD dst_unused:UNUSED_PAD src0_sel:BYTE_0 src1_sel:DWORD
	v_or_b32_sdwa v100, v101, v102 dst_sel:WORD_1 dst_unused:UNUSED_PAD src0_sel:BYTE_0 src1_sel:DWORD
	v_or_b32_sdwa v93, v110, v113 dst_sel:DWORD dst_unused:UNUSED_PAD src0_sel:WORD_0 src1_sel:DWORD
	v_or_b32_sdwa v94, v108, v112 dst_sel:DWORD dst_unused:UNUSED_PAD src0_sel:WORD_0 src1_sel:DWORD
	;; [unrolled: 1-line block ×8, first 2 shown]
	s_add_i32 s16, s16, 32
	v_add_u32_e32 v34, s40, v34
	v_add_u32_e32 v45, s40, v45
	;; [unrolled: 1-line block ×31, first 2 shown]
	s_cmp_lt_i32 s16, s39
	v_add_u32_e32 v75, s41, v75
	v_dot4c_i32_i8_e32 v0, v132, v133
	v_dot4c_i32_i8_e32 v1, v132, v5
	;; [unrolled: 1-line block ×20, first 2 shown]
	s_waitcnt vmcnt(3)
	v_dot4c_i32_i8_e32 v80, v9, v4
	v_dot4c_i32_i8_e32 v81, v9, v29
	v_dot4c_i32_i8_e32 v82, v9, v30
	v_dot4c_i32_i8_e32 v83, v9, v31
	s_waitcnt vmcnt(2)
	v_dot4c_i32_i8_e32 v84, v10, v4
	v_dot4c_i32_i8_e32 v85, v10, v29
	v_dot4c_i32_i8_e32 v86, v10, v30
	v_dot4c_i32_i8_e32 v87, v10, v31
	;; [unrolled: 5-line block ×3, first 2 shown]
	s_waitcnt vmcnt(0)
	v_lshl_add_u64 v[4:5], v[32:33], 0, v[42:43]
	scratch_store_dwordx4 off, v[0:3], off offset:272
	scratch_store_dwordx4 off, v[12:15], off offset:304
	;; [unrolled: 1-line block ×8, first 2 shown]
	flat_store_dwordx4 v[4:5], v[92:95]
	flat_store_dwordx4 v[4:5], v[96:99] offset:512
	scratch_load_dwordx2 v[8:9], off, off offset:416
	v_lshlrev_b16_e32 v0, 8, v104
	v_lshlrev_b16_e32 v4, 8, v105
	v_lshlrev_b16_e32 v10, 8, v107
	v_lshlrev_b16_e32 v11, 8, v106
	v_or_b32_sdwa v0, v76, v0 dst_sel:DWORD dst_unused:UNUSED_PAD src0_sel:BYTE_0 src1_sel:DWORD
	v_or_b32_sdwa v4, v77, v4 dst_sel:WORD_1 dst_unused:UNUSED_PAD src0_sel:BYTE_0 src1_sel:DWORD
	v_or_b32_sdwa v1, v122, v125 dst_sel:DWORD dst_unused:UNUSED_PAD src0_sel:WORD_0 src1_sel:DWORD
	v_or_b32_sdwa v2, v121, v124 dst_sel:DWORD dst_unused:UNUSED_PAD src0_sel:WORD_0 src1_sel:DWORD
	;; [unrolled: 1-line block ×3, first 2 shown]
	v_or_b32_sdwa v10, v79, v10 dst_sel:DWORD dst_unused:UNUSED_PAD src0_sel:BYTE_0 src1_sel:DWORD
	v_or_b32_sdwa v11, v78, v11 dst_sel:WORD_1 dst_unused:UNUSED_PAD src0_sel:BYTE_0 src1_sel:DWORD
	v_or_b32_sdwa v0, v0, v4 dst_sel:DWORD dst_unused:UNUSED_PAD src0_sel:WORD_0 src1_sel:DWORD
	v_or_b32_sdwa v5, v131, v128 dst_sel:DWORD dst_unused:UNUSED_PAD src0_sel:WORD_0 src1_sel:DWORD
	;; [unrolled: 1-line block ×5, first 2 shown]
	s_waitcnt vmcnt(0)
	v_lshl_add_u64 v[8:9], v[8:9], 0, v[42:43]
	flat_store_dwordx4 v[8:9], v[0:3]
	flat_store_dwordx4 v[8:9], v[4:7] offset:512
	s_cbranch_scc1 .LBB3_1
; %bb.2:
	s_waitcnt lgkmcnt(0)
	s_barrier
	scratch_load_dword v4, off, off offset:80
	scratch_load_dwordx2 v[6:7], off, off offset:400
	s_mov_b32 s8, 0
	s_mov_b32 s9, s8
	;; [unrolled: 1-line block ×4, first 2 shown]
	v_mov_b64_e32 v[0:1], s[8:9]
	v_mov_b64_e32 v[2:3], s[10:11]
	scratch_load_dword v8, off, off offset:112
	scratch_load_dwordx2 v[10:11], off, off offset:416
	s_nop 0
	scratch_store_dwordx4 off, v[0:3], off
	scratch_store_dwordx4 off, v[0:3], off offset:16
	scratch_store_dwordx4 off, v[0:3], off offset:32
	;; [unrolled: 1-line block ×3, first 2 shown]
	s_mov_b64 s[8:9], src_private_base
	s_waitcnt vmcnt(0)
	v_ashrrev_i32_e32 v5, 31, v4
	v_lshl_add_u64 v[32:33], v[6:7], 0, v[4:5]
	flat_load_dwordx4 v[0:3], v[32:33]
	v_ashrrev_i32_e32 v9, 31, v8
	v_lshl_add_u64 v[8:9], v[10:11], 0, v[8:9]
	s_waitcnt vmcnt(0) lgkmcnt(0)
	scratch_store_dwordx4 off, v[0:3], off
	flat_load_dwordx4 v[4:7], v[8:9]
	s_waitcnt vmcnt(0) lgkmcnt(0)
	scratch_store_dwordx4 off, v[4:7], off offset:32
	flat_load_dwordx4 v[8:11], v[8:9] offset:256
	s_nop 0
	scratch_load_dwordx4 v[12:15], off, off offset:144
	scratch_load_dwordx4 v[16:19], off, off offset:176
	;; [unrolled: 1-line block ×8, first 2 shown]
	s_waitcnt vmcnt(0)
	v_dot4c_i32_i8_e32 v12, v0, v4
	s_waitcnt lgkmcnt(0)
	scratch_store_dwordx4 off, v[8:11], off offset:48
	flat_load_dwordx4 v[50:53], v[32:33] offset:256
	v_dot4c_i32_i8_e32 v13, v0, v5
	v_dot4c_i32_i8_e32 v14, v0, v6
	;; [unrolled: 1-line block ×31, first 2 shown]
	v_mov_b32_e32 v0, s22
	v_mov_b32_e32 v1, s3
	;; [unrolled: 1-line block ×12, first 2 shown]
	scratch_store_dwordx4 off, v[12:15], off offset:144
	scratch_store_dwordx4 off, v[16:19], off offset:176
	;; [unrolled: 1-line block ×8, first 2 shown]
	s_waitcnt vmcnt(0) lgkmcnt(0)
	scratch_store_dwordx4 off, v[50:53], off offset:16
	s_swappc_b64 s[30:31], s[18:19]
	scratch_load_dword v36, off, off offset:16
	scratch_load_dword v78, off, off offset:32
	scratch_load_dwordx4 v[0:3], off, off offset:272
	scratch_load_dwordx4 v[16:19], off, off offset:32
	scratch_load_dwordx4 v[4:7], off, off offset:16
	scratch_load_dwordx4 v[8:11], off, off offset:304
	scratch_load_dwordx4 v[20:23], off, off offset:336
	scratch_load_dwordx4 v[24:27], off, off offset:368
	scratch_load_dword v4, off, off offset:48
	scratch_load_dwordx4 v[12:15], off, off offset:288
	scratch_load_dwordx4 v[28:31], off, off offset:352
	;; [unrolled: 1-line block ×12, first 2 shown]
	s_waitcnt vmcnt(17)
	v_add_u32_e32 v16, s1, v35
	v_mul_lo_u32 v16, v16, s28
	v_add3_u32 v37, s17, v37, v16
	s_waitcnt vmcnt(9)
	v_add_u32_e32 v38, s28, v37
	v_add_u32_e32 v80, s28, v38
	s_lshl_b32 s1, s28, 6
	v_add_u32_e32 v16, 64, v80
	v_add_u32_e32 v82, s28, v16
	v_add_u32_e32 v84, s1, v16
	scratch_load_dwordx4 v[32:35], off, off offset:240
	s_mov_b32 s0, 0xc0c0500
	v_add_u32_e32 v81, s28, v80
	s_mov_b32 s7, 0x20000
	v_add_u32_e32 v83, s1, v81
	v_add_u32_e32 v79, 64, v38
	v_subrev_u32_e32 v85, 64, v84
	v_dot4c_i32_i8_e32 v12, v36, v4
	v_dot4c_i32_i8_e32 v13, v36, v39
	;; [unrolled: 1-line block ×4, first 2 shown]
	s_waitcnt vmcnt(9)
	v_dot4c_i32_i8_e32 v42, v7, v4
	v_dot4c_i32_i8_e32 v43, v7, v39
	;; [unrolled: 1-line block ×11, first 2 shown]
	scratch_store_dwordx4 off, v[24:27], off offset:368
	scratch_store_dwordx4 off, v[42:45], off offset:384
	v_dot4c_i32_i8_e32 v31, v6, v41
	v_dot4c_i32_i8_e32 v2, v36, v18
	v_dot4c_i32_i8_e32 v3, v36, v19
	v_dot4c_i32_i8_e32 v9, v5, v17
	v_dot4c_i32_i8_e32 v10, v5, v18
	v_dot4c_i32_i8_e32 v11, v5, v19
	v_dot4c_i32_i8_e32 v20, v6, v78
	v_dot4c_i32_i8_e32 v21, v6, v17
	v_dot4c_i32_i8_e32 v22, v6, v18
	v_dot4c_i32_i8_e32 v23, v6, v19
	scratch_load_dwordx4 v[16:19], off, off offset:368
	scratch_load_dwordx4 v[24:27], off, off offset:384
	v_dot4c_i32_i8_e32 v8, v5, v78
	scratch_store_dwordx4 off, v[28:31], off offset:352
	scratch_load_dwordx4 v[28:31], off, off offset:352
	s_waitcnt vmcnt(14)
	v_dot4c_i32_i8_e32 v46, v5, v4
	scratch_store_dwordx4 off, v[20:23], off offset:336
	scratch_load_dwordx4 v[20:23], off, off offset:336
	v_dot4c_i32_i8_e32 v47, v5, v39
	scratch_store_dwordx4 off, v[8:11], off offset:304
	v_dot4c_i32_i8_e32 v48, v5, v40
	v_dot4c_i32_i8_e32 v49, v5, v41
	scratch_load_dwordx4 v[4:7], off, off offset:304
	v_dot4c_i32_i8_e32 v14, v36, v40
	v_dot4c_i32_i8_e32 v15, v36, v41
	scratch_store_dwordx4 off, v[46:49], off offset:320
	scratch_load_dwordx4 v[8:11], off, off offset:320
	s_waitcnt vmcnt(19)
	v_lshlrev_b32_e32 v36, 8, v51
	scratch_store_dwordx4 off, v[12:15], off offset:288
	scratch_load_dwordx4 v[12:15], off, off offset:288
	v_lshlrev_b32_e32 v39, 16, v52
	scratch_store_dwordx4 off, v[0:3], off offset:272
	scratch_load_dwordx4 v[0:3], off, off offset:272
	v_lshlrev_b32_e32 v40, 24, v53
	s_waitcnt vmcnt(22)
	v_lshlrev_b32_e32 v41, 8, v55
	v_lshlrev_b32_e32 v42, 16, v56
	v_lshlrev_b32_e32 v43, 24, v57
	s_waitcnt vmcnt(21)
	v_lshlrev_b32_e32 v44, 8, v59
	v_lshlrev_b32_e32 v45, 16, v60
	;; [unrolled: 4-line block ×3, first 2 shown]
	s_waitcnt vmcnt(19)
	v_lshlrev_b32_e32 v56, 8, v67
	v_lshlrev_b32_e32 v57, 16, v68
	s_waitcnt vmcnt(18)
	v_lshlrev_b32_e32 v60, 8, v71
	v_lshlrev_b32_e32 v61, 16, v72
	;; [unrolled: 3-line block ×4, first 2 shown]
	v_and_b32_e32 v39, 0xff0000, v39
	v_perm_b32 v36, v36, v50, s0
	v_lshlrev_b32_e32 v55, 24, v65
	v_lshlrev_b32_e32 v59, 24, v69
	;; [unrolled: 1-line block ×5, first 2 shown]
	v_and_b32_e32 v42, 0xff0000, v42
	v_perm_b32 v41, v41, v54, s0
	v_and_b32_e32 v45, 0xff0000, v45
	v_perm_b32 v44, v44, v58, s0
	;; [unrolled: 2-line block ×7, first 2 shown]
	v_or3_b32 v33, v36, v39, v40
	v_or3_b32 v36, v41, v42, v43
	;; [unrolled: 1-line block ×8, first 2 shown]
	buffer_store_dword v33, v37, s[4:7], 0 offen
	buffer_store_dword v36, v37, s[4:7], 0 offen offset:64
	buffer_store_dword v39, v79, s[4:7], 0 offen
	buffer_store_dword v40, v38, s[4:7], 0 offen
	buffer_store_dword v41, v80, s[4:7], 0 offen
	buffer_store_dword v42, v80, s[4:7], 0 offen offset:64
	buffer_store_dword v43, v82, s[4:7], 0 offen
	buffer_store_dword v32, v81, s[4:7], 0 offen
	s_waitcnt vmcnt(21)
	v_lshlrev_b32_e32 v17, 8, v17
	v_lshlrev_b32_e32 v18, 16, v18
	s_waitcnt vmcnt(20)
	v_lshlrev_b32_e32 v25, 8, v25
	v_lshlrev_b32_e32 v26, 16, v26
	;; [unrolled: 1-line block ×4, first 2 shown]
	s_waitcnt vmcnt(18)
	v_lshlrev_b32_e32 v29, 8, v29
	v_lshlrev_b32_e32 v30, 16, v30
	v_and_b32_e32 v18, 0xff0000, v18
	v_perm_b32 v16, v17, v16, s0
	v_and_b32_e32 v17, 0xff0000, v26
	v_perm_b32 v24, v25, v24, s0
	v_lshlrev_b32_e32 v31, 24, v31
	s_waitcnt vmcnt(16)
	v_lshlrev_b32_e32 v21, 8, v21
	v_lshlrev_b32_e32 v22, 16, v22
	v_and_b32_e32 v25, 0xff0000, v30
	v_perm_b32 v26, v29, v28, s0
	v_or3_b32 v16, v16, v18, v19
	v_or3_b32 v17, v24, v17, v27
	v_and_b32_e32 v22, 0xff0000, v22
	v_or3_b32 v18, v26, v25, v31
	buffer_store_dword v16, v83, s[4:7], 0 offen
	buffer_store_dword v17, v83, s[4:7], 0 offen offset:64
	buffer_store_dword v18, v84, s[4:7], 0 offen
	v_perm_b32 v16, v21, v20, s0
	v_lshlrev_b32_e32 v17, 24, v23
	s_waitcnt vmcnt(17)
	v_lshlrev_b32_e32 v5, 8, v5
	v_lshlrev_b32_e32 v6, 16, v6
	v_or3_b32 v16, v16, v22, v17
	v_and_b32_e32 v6, 0xff0000, v6
	v_perm_b32 v4, v5, v4, s0
	v_lshlrev_b32_e32 v5, 24, v7
	buffer_store_dword v16, v85, s[4:7], 0 offen
	v_subrev_u32_e32 v16, s28, v85
	v_or3_b32 v4, v4, v6, v5
	buffer_store_dword v4, v16, s[4:7], 0 offen
	s_waitcnt vmcnt(17)
	v_lshlrev_b32_e32 v4, 8, v9
	v_lshlrev_b32_e32 v5, 16, v10
	v_and_b32_e32 v5, 0xff0000, v5
	v_perm_b32 v4, v4, v8, s0
	v_lshlrev_b32_e32 v6, 24, v11
	v_or3_b32 v4, v4, v5, v6
	s_waitcnt vmcnt(15)
	v_lshlrev_b32_e32 v6, 8, v13
	v_lshlrev_b32_e32 v7, 16, v14
	s_waitcnt vmcnt(13)
	v_lshlrev_b32_e32 v1, 8, v1
	v_lshlrev_b32_e32 v2, 16, v2
	buffer_store_dword v4, v16, s[4:7], 0 offen offset:64
	v_subrev_u32_e32 v4, s28, v16
	v_and_b32_e32 v7, 0xff0000, v7
	v_perm_b32 v6, v6, v12, s0
	v_lshlrev_b32_e32 v8, 24, v15
	v_and_b32_e32 v2, 0xff0000, v2
	v_perm_b32 v0, v1, v0, s0
	v_lshlrev_b32_e32 v1, 24, v3
	v_add_u32_e32 v5, 64, v4
	v_or3_b32 v6, v6, v7, v8
	v_or3_b32 v0, v0, v2, v1
	buffer_store_dword v6, v5, s[4:7], 0 offen
	buffer_store_dword v0, v4, s[4:7], 0 offen
	s_endpgm
	.section	.rodata,"a",@progbits
	.p2align	6, 0x0
	.amdhsa_kernel _ZN2ck19kernel_gemm_dl_v1r3INS_28GridwiseGemmDl_km_kn_mn_v1r3ILi256EaiaLNS_25InMemoryDataOperationEnumE0ENS_16TensorDescriptorINS_5TupleIJNS_5EmbedINS4_IJiiEEENS4_IJNS_17integral_constantIiLi1EEEiEEELb0EEENS_7UnMergeINS4_IJiNS7_IiLi4EEEEEELb0EEENS_11PassThroughIiEEEEENS4_IJNS_8SequenceIJLi0EEEENSI_IJLi2EEEENSI_IJLi1EEEEEEENS4_IJNSI_IJLi1ELi2EEEENSI_IJLi3ELi4EEEENSI_IJLi5EEEEEEENSI_IJLi3ELi5ELi4EEEElEENS3_INS4_IJNS5_IS6_NS4_IJiS8_EEELb0EEESE_SG_EEENS4_IJSJ_SL_SK_EEESQ_SR_lEENS3_INS4_IJSU_SG_SG_EEESW_NS4_IJSN_NSI_IJLi3EEEENSI_IJLi4EEEEEEESO_lEELi128ELi128ELi16ELi4ELi4ELi4ELi1ENSI_IJLi8ELi2EEEES13_NSI_IJLi2ELi1ELi4ELi4EEEENSI_IJLi8ELi1ELi32ELi1EEEENSI_IJLi0ELi3ELi1ELi2EEEES16_NSI_IJLi1ELi1ELi4ELi1EEEES16_NSI_IJLi1ELi1ELi4ELi4EEEES14_S15_S16_S16_S17_S16_S18_NSI_IJLi0ELi1ELi2ELi3ELi4ELi5EEEELi5ELi4EEEaaNS3_INS4_IJSA_SE_SG_SG_NSB_INS4_IJiNS7_IiLi128EEEEEELb0EEENSF_ISC_EEEEENS4_IJSJ_SK_SL_SZ_SP_S10_EEENS4_IJSN_SO_SP_NSI_IJLi6EEEENSI_IJLi7ELi8EEEENSI_IJLi9EEEEEEENSI_IJLi6ELi7ELi8ELi9EEEElEENS3_INS4_IJSU_SE_SG_SG_S1D_S1E_EEENS4_IJSJ_SL_SK_SZ_SP_S10_EEES1K_S1L_lEENS3_INS4_IJSU_SG_SG_NSB_INS4_IJiNS7_IiLi2EEENS7_IiLi64EEEEEELb0EEES1T_EEENS4_IJSJ_SL_SK_SZ_S10_EEENS4_IJSN_SZ_S10_NSI_IJLi5ELi6ELi7EEEENSI_IJLi8ELi9ELi10EEEEEEENSI_IJLi5ELi6ELi7ELi8ELi9ELi10EEEElEENS_31BlockToCTileMap_M00_N00_M01_N01ILi128ELi128ES12_Lb0EEELb1ELb0EEEvPKT0_S25_PT1_T2_T3_T4_T5_
		.amdhsa_group_segment_fixed_size 32768
		.amdhsa_private_segment_fixed_size 480
		.amdhsa_kernarg_size 328
		.amdhsa_user_sgpr_count 2
		.amdhsa_user_sgpr_dispatch_ptr 0
		.amdhsa_user_sgpr_queue_ptr 0
		.amdhsa_user_sgpr_kernarg_segment_ptr 1
		.amdhsa_user_sgpr_dispatch_id 0
		.amdhsa_user_sgpr_kernarg_preload_length 0
		.amdhsa_user_sgpr_kernarg_preload_offset 0
		.amdhsa_user_sgpr_private_segment_size 0
		.amdhsa_uses_dynamic_stack 0
		.amdhsa_enable_private_segment 1
		.amdhsa_system_sgpr_workgroup_id_x 1
		.amdhsa_system_sgpr_workgroup_id_y 0
		.amdhsa_system_sgpr_workgroup_id_z 0
		.amdhsa_system_sgpr_workgroup_info 0
		.amdhsa_system_vgpr_workitem_id 0
		.amdhsa_next_free_vgpr 138
		.amdhsa_next_free_sgpr 44
		.amdhsa_accum_offset 140
		.amdhsa_reserve_vcc 1
		.amdhsa_float_round_mode_32 0
		.amdhsa_float_round_mode_16_64 0
		.amdhsa_float_denorm_mode_32 3
		.amdhsa_float_denorm_mode_16_64 3
		.amdhsa_dx10_clamp 1
		.amdhsa_ieee_mode 1
		.amdhsa_fp16_overflow 0
		.amdhsa_tg_split 0
		.amdhsa_exception_fp_ieee_invalid_op 0
		.amdhsa_exception_fp_denorm_src 0
		.amdhsa_exception_fp_ieee_div_zero 0
		.amdhsa_exception_fp_ieee_overflow 0
		.amdhsa_exception_fp_ieee_underflow 0
		.amdhsa_exception_fp_ieee_inexact 0
		.amdhsa_exception_int_div_zero 0
	.end_amdhsa_kernel
	.section	.text._ZN2ck19kernel_gemm_dl_v1r3INS_28GridwiseGemmDl_km_kn_mn_v1r3ILi256EaiaLNS_25InMemoryDataOperationEnumE0ENS_16TensorDescriptorINS_5TupleIJNS_5EmbedINS4_IJiiEEENS4_IJNS_17integral_constantIiLi1EEEiEEELb0EEENS_7UnMergeINS4_IJiNS7_IiLi4EEEEEELb0EEENS_11PassThroughIiEEEEENS4_IJNS_8SequenceIJLi0EEEENSI_IJLi2EEEENSI_IJLi1EEEEEEENS4_IJNSI_IJLi1ELi2EEEENSI_IJLi3ELi4EEEENSI_IJLi5EEEEEEENSI_IJLi3ELi5ELi4EEEElEENS3_INS4_IJNS5_IS6_NS4_IJiS8_EEELb0EEESE_SG_EEENS4_IJSJ_SL_SK_EEESQ_SR_lEENS3_INS4_IJSU_SG_SG_EEESW_NS4_IJSN_NSI_IJLi3EEEENSI_IJLi4EEEEEEESO_lEELi128ELi128ELi16ELi4ELi4ELi4ELi1ENSI_IJLi8ELi2EEEES13_NSI_IJLi2ELi1ELi4ELi4EEEENSI_IJLi8ELi1ELi32ELi1EEEENSI_IJLi0ELi3ELi1ELi2EEEES16_NSI_IJLi1ELi1ELi4ELi1EEEES16_NSI_IJLi1ELi1ELi4ELi4EEEES14_S15_S16_S16_S17_S16_S18_NSI_IJLi0ELi1ELi2ELi3ELi4ELi5EEEELi5ELi4EEEaaNS3_INS4_IJSA_SE_SG_SG_NSB_INS4_IJiNS7_IiLi128EEEEEELb0EEENSF_ISC_EEEEENS4_IJSJ_SK_SL_SZ_SP_S10_EEENS4_IJSN_SO_SP_NSI_IJLi6EEEENSI_IJLi7ELi8EEEENSI_IJLi9EEEEEEENSI_IJLi6ELi7ELi8ELi9EEEElEENS3_INS4_IJSU_SE_SG_SG_S1D_S1E_EEENS4_IJSJ_SL_SK_SZ_SP_S10_EEES1K_S1L_lEENS3_INS4_IJSU_SG_SG_NSB_INS4_IJiNS7_IiLi2EEENS7_IiLi64EEEEEELb0EEES1T_EEENS4_IJSJ_SL_SK_SZ_S10_EEENS4_IJSN_SZ_S10_NSI_IJLi5ELi6ELi7EEEENSI_IJLi8ELi9ELi10EEEEEEENSI_IJLi5ELi6ELi7ELi8ELi9ELi10EEEElEENS_31BlockToCTileMap_M00_N00_M01_N01ILi128ELi128ES12_Lb0EEELb1ELb0EEEvPKT0_S25_PT1_T2_T3_T4_T5_,"axG",@progbits,_ZN2ck19kernel_gemm_dl_v1r3INS_28GridwiseGemmDl_km_kn_mn_v1r3ILi256EaiaLNS_25InMemoryDataOperationEnumE0ENS_16TensorDescriptorINS_5TupleIJNS_5EmbedINS4_IJiiEEENS4_IJNS_17integral_constantIiLi1EEEiEEELb0EEENS_7UnMergeINS4_IJiNS7_IiLi4EEEEEELb0EEENS_11PassThroughIiEEEEENS4_IJNS_8SequenceIJLi0EEEENSI_IJLi2EEEENSI_IJLi1EEEEEEENS4_IJNSI_IJLi1ELi2EEEENSI_IJLi3ELi4EEEENSI_IJLi5EEEEEEENSI_IJLi3ELi5ELi4EEEElEENS3_INS4_IJNS5_IS6_NS4_IJiS8_EEELb0EEESE_SG_EEENS4_IJSJ_SL_SK_EEESQ_SR_lEENS3_INS4_IJSU_SG_SG_EEESW_NS4_IJSN_NSI_IJLi3EEEENSI_IJLi4EEEEEEESO_lEELi128ELi128ELi16ELi4ELi4ELi4ELi1ENSI_IJLi8ELi2EEEES13_NSI_IJLi2ELi1ELi4ELi4EEEENSI_IJLi8ELi1ELi32ELi1EEEENSI_IJLi0ELi3ELi1ELi2EEEES16_NSI_IJLi1ELi1ELi4ELi1EEEES16_NSI_IJLi1ELi1ELi4ELi4EEEES14_S15_S16_S16_S17_S16_S18_NSI_IJLi0ELi1ELi2ELi3ELi4ELi5EEEELi5ELi4EEEaaNS3_INS4_IJSA_SE_SG_SG_NSB_INS4_IJiNS7_IiLi128EEEEEELb0EEENSF_ISC_EEEEENS4_IJSJ_SK_SL_SZ_SP_S10_EEENS4_IJSN_SO_SP_NSI_IJLi6EEEENSI_IJLi7ELi8EEEENSI_IJLi9EEEEEEENSI_IJLi6ELi7ELi8ELi9EEEElEENS3_INS4_IJSU_SE_SG_SG_S1D_S1E_EEENS4_IJSJ_SL_SK_SZ_SP_S10_EEES1K_S1L_lEENS3_INS4_IJSU_SG_SG_NSB_INS4_IJiNS7_IiLi2EEENS7_IiLi64EEEEEELb0EEES1T_EEENS4_IJSJ_SL_SK_SZ_S10_EEENS4_IJSN_SZ_S10_NSI_IJLi5ELi6ELi7EEEENSI_IJLi8ELi9ELi10EEEEEEENSI_IJLi5ELi6ELi7ELi8ELi9ELi10EEEElEENS_31BlockToCTileMap_M00_N00_M01_N01ILi128ELi128ES12_Lb0EEELb1ELb0EEEvPKT0_S25_PT1_T2_T3_T4_T5_,comdat
.Lfunc_end3:
	.size	_ZN2ck19kernel_gemm_dl_v1r3INS_28GridwiseGemmDl_km_kn_mn_v1r3ILi256EaiaLNS_25InMemoryDataOperationEnumE0ENS_16TensorDescriptorINS_5TupleIJNS_5EmbedINS4_IJiiEEENS4_IJNS_17integral_constantIiLi1EEEiEEELb0EEENS_7UnMergeINS4_IJiNS7_IiLi4EEEEEELb0EEENS_11PassThroughIiEEEEENS4_IJNS_8SequenceIJLi0EEEENSI_IJLi2EEEENSI_IJLi1EEEEEEENS4_IJNSI_IJLi1ELi2EEEENSI_IJLi3ELi4EEEENSI_IJLi5EEEEEEENSI_IJLi3ELi5ELi4EEEElEENS3_INS4_IJNS5_IS6_NS4_IJiS8_EEELb0EEESE_SG_EEENS4_IJSJ_SL_SK_EEESQ_SR_lEENS3_INS4_IJSU_SG_SG_EEESW_NS4_IJSN_NSI_IJLi3EEEENSI_IJLi4EEEEEEESO_lEELi128ELi128ELi16ELi4ELi4ELi4ELi1ENSI_IJLi8ELi2EEEES13_NSI_IJLi2ELi1ELi4ELi4EEEENSI_IJLi8ELi1ELi32ELi1EEEENSI_IJLi0ELi3ELi1ELi2EEEES16_NSI_IJLi1ELi1ELi4ELi1EEEES16_NSI_IJLi1ELi1ELi4ELi4EEEES14_S15_S16_S16_S17_S16_S18_NSI_IJLi0ELi1ELi2ELi3ELi4ELi5EEEELi5ELi4EEEaaNS3_INS4_IJSA_SE_SG_SG_NSB_INS4_IJiNS7_IiLi128EEEEEELb0EEENSF_ISC_EEEEENS4_IJSJ_SK_SL_SZ_SP_S10_EEENS4_IJSN_SO_SP_NSI_IJLi6EEEENSI_IJLi7ELi8EEEENSI_IJLi9EEEEEEENSI_IJLi6ELi7ELi8ELi9EEEElEENS3_INS4_IJSU_SE_SG_SG_S1D_S1E_EEENS4_IJSJ_SL_SK_SZ_SP_S10_EEES1K_S1L_lEENS3_INS4_IJSU_SG_SG_NSB_INS4_IJiNS7_IiLi2EEENS7_IiLi64EEEEEELb0EEES1T_EEENS4_IJSJ_SL_SK_SZ_S10_EEENS4_IJSN_SZ_S10_NSI_IJLi5ELi6ELi7EEEENSI_IJLi8ELi9ELi10EEEEEEENSI_IJLi5ELi6ELi7ELi8ELi9ELi10EEEElEENS_31BlockToCTileMap_M00_N00_M01_N01ILi128ELi128ES12_Lb0EEELb1ELb0EEEvPKT0_S25_PT1_T2_T3_T4_T5_, .Lfunc_end3-_ZN2ck19kernel_gemm_dl_v1r3INS_28GridwiseGemmDl_km_kn_mn_v1r3ILi256EaiaLNS_25InMemoryDataOperationEnumE0ENS_16TensorDescriptorINS_5TupleIJNS_5EmbedINS4_IJiiEEENS4_IJNS_17integral_constantIiLi1EEEiEEELb0EEENS_7UnMergeINS4_IJiNS7_IiLi4EEEEEELb0EEENS_11PassThroughIiEEEEENS4_IJNS_8SequenceIJLi0EEEENSI_IJLi2EEEENSI_IJLi1EEEEEEENS4_IJNSI_IJLi1ELi2EEEENSI_IJLi3ELi4EEEENSI_IJLi5EEEEEEENSI_IJLi3ELi5ELi4EEEElEENS3_INS4_IJNS5_IS6_NS4_IJiS8_EEELb0EEESE_SG_EEENS4_IJSJ_SL_SK_EEESQ_SR_lEENS3_INS4_IJSU_SG_SG_EEESW_NS4_IJSN_NSI_IJLi3EEEENSI_IJLi4EEEEEEESO_lEELi128ELi128ELi16ELi4ELi4ELi4ELi1ENSI_IJLi8ELi2EEEES13_NSI_IJLi2ELi1ELi4ELi4EEEENSI_IJLi8ELi1ELi32ELi1EEEENSI_IJLi0ELi3ELi1ELi2EEEES16_NSI_IJLi1ELi1ELi4ELi1EEEES16_NSI_IJLi1ELi1ELi4ELi4EEEES14_S15_S16_S16_S17_S16_S18_NSI_IJLi0ELi1ELi2ELi3ELi4ELi5EEEELi5ELi4EEEaaNS3_INS4_IJSA_SE_SG_SG_NSB_INS4_IJiNS7_IiLi128EEEEEELb0EEENSF_ISC_EEEEENS4_IJSJ_SK_SL_SZ_SP_S10_EEENS4_IJSN_SO_SP_NSI_IJLi6EEEENSI_IJLi7ELi8EEEENSI_IJLi9EEEEEEENSI_IJLi6ELi7ELi8ELi9EEEElEENS3_INS4_IJSU_SE_SG_SG_S1D_S1E_EEENS4_IJSJ_SL_SK_SZ_SP_S10_EEES1K_S1L_lEENS3_INS4_IJSU_SG_SG_NSB_INS4_IJiNS7_IiLi2EEENS7_IiLi64EEEEEELb0EEES1T_EEENS4_IJSJ_SL_SK_SZ_S10_EEENS4_IJSN_SZ_S10_NSI_IJLi5ELi6ELi7EEEENSI_IJLi8ELi9ELi10EEEEEEENSI_IJLi5ELi6ELi7ELi8ELi9ELi10EEEElEENS_31BlockToCTileMap_M00_N00_M01_N01ILi128ELi128ES12_Lb0EEELb1ELb0EEEvPKT0_S25_PT1_T2_T3_T4_T5_
                                        ; -- End function
	.section	.AMDGPU.csdata,"",@progbits
; Kernel info:
; codeLenInByte = 7764
; NumSgprs: 50
; NumVgprs: 138
; NumAgprs: 0
; TotalNumVgprs: 138
; ScratchSize: 480
; MemoryBound: 0
; FloatMode: 240
; IeeeMode: 1
; LDSByteSize: 32768 bytes/workgroup (compile time only)
; SGPRBlocks: 6
; VGPRBlocks: 17
; NumSGPRsForWavesPerEU: 50
; NumVGPRsForWavesPerEU: 138
; AccumOffset: 140
; Occupancy: 2
; WaveLimiterHint : 1
; COMPUTE_PGM_RSRC2:SCRATCH_EN: 1
; COMPUTE_PGM_RSRC2:USER_SGPR: 2
; COMPUTE_PGM_RSRC2:TRAP_HANDLER: 0
; COMPUTE_PGM_RSRC2:TGID_X_EN: 1
; COMPUTE_PGM_RSRC2:TGID_Y_EN: 0
; COMPUTE_PGM_RSRC2:TGID_Z_EN: 0
; COMPUTE_PGM_RSRC2:TIDIG_COMP_CNT: 0
; COMPUTE_PGM_RSRC3_GFX90A:ACCUM_OFFSET: 34
; COMPUTE_PGM_RSRC3_GFX90A:TG_SPLIT: 0
	.section	.text._ZN2ck19kernel_gemm_dl_v1r3INS_28GridwiseGemmDl_km_kn_mn_v1r3ILi256EaiaLNS_25InMemoryDataOperationEnumE0ENS_16TensorDescriptorINS_5TupleIJNS_5EmbedINS4_IJiiEEENS4_IJNS_17integral_constantIiLi1EEEiEEELb0EEENS_7UnMergeINS4_IJiNS7_IiLi4EEEEEELb0EEENS_11PassThroughIiEEEEENS4_IJNS_8SequenceIJLi0EEEENSI_IJLi2EEEENSI_IJLi1EEEEEEENS4_IJNSI_IJLi1ELi2EEEENSI_IJLi3ELi4EEEENSI_IJLi5EEEEEEENSI_IJLi3ELi5ELi4EEEElEENS3_INS4_IJNS5_IS6_NS4_IJiS8_EEELb0EEESE_SG_EEENS4_IJSJ_SL_SK_EEESQ_SR_lEENS3_INS4_IJSU_SG_SG_EEESW_NS4_IJSN_NSI_IJLi3EEEENSI_IJLi4EEEEEEESO_lEELi128ELi128ELi16ELi4ELi4ELi4ELi1ENSI_IJLi8ELi2EEEES13_NSI_IJLi2ELi1ELi4ELi4EEEENSI_IJLi8ELi1ELi32ELi1EEEENSI_IJLi0ELi3ELi1ELi2EEEES16_NSI_IJLi1ELi1ELi4ELi1EEEES16_NSI_IJLi1ELi1ELi4ELi4EEEES14_S15_S16_S16_S17_S16_S18_NSI_IJLi0ELi1ELi2ELi3ELi4ELi5EEEELi5ELi4EEEaaNS3_INS4_IJSA_SE_SG_SG_NSB_INS4_IJiNS7_IiLi128EEEEEELb0EEENSF_ISC_EEEEENS4_IJSJ_SK_SL_SZ_SP_S10_EEENS4_IJSN_SO_SP_NSI_IJLi6EEEENSI_IJLi7ELi8EEEENSI_IJLi9EEEEEEENSI_IJLi6ELi7ELi8ELi9EEEElEENS3_INS4_IJSU_SE_SG_SG_S1D_S1E_EEENS4_IJSJ_SL_SK_SZ_SP_S10_EEES1K_S1L_lEENS3_INS4_IJSU_SG_SG_NSB_INS4_IJiNS7_IiLi2EEENS7_IiLi64EEEEEELb0EEES1T_EEENS4_IJSJ_SL_SK_SZ_S10_EEENS4_IJSN_SZ_S10_NSI_IJLi5ELi6ELi7EEEENSI_IJLi8ELi9ELi10EEEEEEENSI_IJLi5ELi6ELi7ELi8ELi9ELi10EEEElEENS_31BlockToCTileMap_M00_N00_M01_N01ILi128ELi128ES12_Lb0EEELb0ELb1EEEvPKT0_S25_PT1_T2_T3_T4_T5_,"axG",@progbits,_ZN2ck19kernel_gemm_dl_v1r3INS_28GridwiseGemmDl_km_kn_mn_v1r3ILi256EaiaLNS_25InMemoryDataOperationEnumE0ENS_16TensorDescriptorINS_5TupleIJNS_5EmbedINS4_IJiiEEENS4_IJNS_17integral_constantIiLi1EEEiEEELb0EEENS_7UnMergeINS4_IJiNS7_IiLi4EEEEEELb0EEENS_11PassThroughIiEEEEENS4_IJNS_8SequenceIJLi0EEEENSI_IJLi2EEEENSI_IJLi1EEEEEEENS4_IJNSI_IJLi1ELi2EEEENSI_IJLi3ELi4EEEENSI_IJLi5EEEEEEENSI_IJLi3ELi5ELi4EEEElEENS3_INS4_IJNS5_IS6_NS4_IJiS8_EEELb0EEESE_SG_EEENS4_IJSJ_SL_SK_EEESQ_SR_lEENS3_INS4_IJSU_SG_SG_EEESW_NS4_IJSN_NSI_IJLi3EEEENSI_IJLi4EEEEEEESO_lEELi128ELi128ELi16ELi4ELi4ELi4ELi1ENSI_IJLi8ELi2EEEES13_NSI_IJLi2ELi1ELi4ELi4EEEENSI_IJLi8ELi1ELi32ELi1EEEENSI_IJLi0ELi3ELi1ELi2EEEES16_NSI_IJLi1ELi1ELi4ELi1EEEES16_NSI_IJLi1ELi1ELi4ELi4EEEES14_S15_S16_S16_S17_S16_S18_NSI_IJLi0ELi1ELi2ELi3ELi4ELi5EEEELi5ELi4EEEaaNS3_INS4_IJSA_SE_SG_SG_NSB_INS4_IJiNS7_IiLi128EEEEEELb0EEENSF_ISC_EEEEENS4_IJSJ_SK_SL_SZ_SP_S10_EEENS4_IJSN_SO_SP_NSI_IJLi6EEEENSI_IJLi7ELi8EEEENSI_IJLi9EEEEEEENSI_IJLi6ELi7ELi8ELi9EEEElEENS3_INS4_IJSU_SE_SG_SG_S1D_S1E_EEENS4_IJSJ_SL_SK_SZ_SP_S10_EEES1K_S1L_lEENS3_INS4_IJSU_SG_SG_NSB_INS4_IJiNS7_IiLi2EEENS7_IiLi64EEEEEELb0EEES1T_EEENS4_IJSJ_SL_SK_SZ_S10_EEENS4_IJSN_SZ_S10_NSI_IJLi5ELi6ELi7EEEENSI_IJLi8ELi9ELi10EEEEEEENSI_IJLi5ELi6ELi7ELi8ELi9ELi10EEEElEENS_31BlockToCTileMap_M00_N00_M01_N01ILi128ELi128ES12_Lb0EEELb0ELb1EEEvPKT0_S25_PT1_T2_T3_T4_T5_,comdat
	.protected	_ZN2ck19kernel_gemm_dl_v1r3INS_28GridwiseGemmDl_km_kn_mn_v1r3ILi256EaiaLNS_25InMemoryDataOperationEnumE0ENS_16TensorDescriptorINS_5TupleIJNS_5EmbedINS4_IJiiEEENS4_IJNS_17integral_constantIiLi1EEEiEEELb0EEENS_7UnMergeINS4_IJiNS7_IiLi4EEEEEELb0EEENS_11PassThroughIiEEEEENS4_IJNS_8SequenceIJLi0EEEENSI_IJLi2EEEENSI_IJLi1EEEEEEENS4_IJNSI_IJLi1ELi2EEEENSI_IJLi3ELi4EEEENSI_IJLi5EEEEEEENSI_IJLi3ELi5ELi4EEEElEENS3_INS4_IJNS5_IS6_NS4_IJiS8_EEELb0EEESE_SG_EEENS4_IJSJ_SL_SK_EEESQ_SR_lEENS3_INS4_IJSU_SG_SG_EEESW_NS4_IJSN_NSI_IJLi3EEEENSI_IJLi4EEEEEEESO_lEELi128ELi128ELi16ELi4ELi4ELi4ELi1ENSI_IJLi8ELi2EEEES13_NSI_IJLi2ELi1ELi4ELi4EEEENSI_IJLi8ELi1ELi32ELi1EEEENSI_IJLi0ELi3ELi1ELi2EEEES16_NSI_IJLi1ELi1ELi4ELi1EEEES16_NSI_IJLi1ELi1ELi4ELi4EEEES14_S15_S16_S16_S17_S16_S18_NSI_IJLi0ELi1ELi2ELi3ELi4ELi5EEEELi5ELi4EEEaaNS3_INS4_IJSA_SE_SG_SG_NSB_INS4_IJiNS7_IiLi128EEEEEELb0EEENSF_ISC_EEEEENS4_IJSJ_SK_SL_SZ_SP_S10_EEENS4_IJSN_SO_SP_NSI_IJLi6EEEENSI_IJLi7ELi8EEEENSI_IJLi9EEEEEEENSI_IJLi6ELi7ELi8ELi9EEEElEENS3_INS4_IJSU_SE_SG_SG_S1D_S1E_EEENS4_IJSJ_SL_SK_SZ_SP_S10_EEES1K_S1L_lEENS3_INS4_IJSU_SG_SG_NSB_INS4_IJiNS7_IiLi2EEENS7_IiLi64EEEEEELb0EEES1T_EEENS4_IJSJ_SL_SK_SZ_S10_EEENS4_IJSN_SZ_S10_NSI_IJLi5ELi6ELi7EEEENSI_IJLi8ELi9ELi10EEEEEEENSI_IJLi5ELi6ELi7ELi8ELi9ELi10EEEElEENS_31BlockToCTileMap_M00_N00_M01_N01ILi128ELi128ES12_Lb0EEELb0ELb1EEEvPKT0_S25_PT1_T2_T3_T4_T5_ ; -- Begin function _ZN2ck19kernel_gemm_dl_v1r3INS_28GridwiseGemmDl_km_kn_mn_v1r3ILi256EaiaLNS_25InMemoryDataOperationEnumE0ENS_16TensorDescriptorINS_5TupleIJNS_5EmbedINS4_IJiiEEENS4_IJNS_17integral_constantIiLi1EEEiEEELb0EEENS_7UnMergeINS4_IJiNS7_IiLi4EEEEEELb0EEENS_11PassThroughIiEEEEENS4_IJNS_8SequenceIJLi0EEEENSI_IJLi2EEEENSI_IJLi1EEEEEEENS4_IJNSI_IJLi1ELi2EEEENSI_IJLi3ELi4EEEENSI_IJLi5EEEEEEENSI_IJLi3ELi5ELi4EEEElEENS3_INS4_IJNS5_IS6_NS4_IJiS8_EEELb0EEESE_SG_EEENS4_IJSJ_SL_SK_EEESQ_SR_lEENS3_INS4_IJSU_SG_SG_EEESW_NS4_IJSN_NSI_IJLi3EEEENSI_IJLi4EEEEEEESO_lEELi128ELi128ELi16ELi4ELi4ELi4ELi1ENSI_IJLi8ELi2EEEES13_NSI_IJLi2ELi1ELi4ELi4EEEENSI_IJLi8ELi1ELi32ELi1EEEENSI_IJLi0ELi3ELi1ELi2EEEES16_NSI_IJLi1ELi1ELi4ELi1EEEES16_NSI_IJLi1ELi1ELi4ELi4EEEES14_S15_S16_S16_S17_S16_S18_NSI_IJLi0ELi1ELi2ELi3ELi4ELi5EEEELi5ELi4EEEaaNS3_INS4_IJSA_SE_SG_SG_NSB_INS4_IJiNS7_IiLi128EEEEEELb0EEENSF_ISC_EEEEENS4_IJSJ_SK_SL_SZ_SP_S10_EEENS4_IJSN_SO_SP_NSI_IJLi6EEEENSI_IJLi7ELi8EEEENSI_IJLi9EEEEEEENSI_IJLi6ELi7ELi8ELi9EEEElEENS3_INS4_IJSU_SE_SG_SG_S1D_S1E_EEENS4_IJSJ_SL_SK_SZ_SP_S10_EEES1K_S1L_lEENS3_INS4_IJSU_SG_SG_NSB_INS4_IJiNS7_IiLi2EEENS7_IiLi64EEEEEELb0EEES1T_EEENS4_IJSJ_SL_SK_SZ_S10_EEENS4_IJSN_SZ_S10_NSI_IJLi5ELi6ELi7EEEENSI_IJLi8ELi9ELi10EEEEEEENSI_IJLi5ELi6ELi7ELi8ELi9ELi10EEEElEENS_31BlockToCTileMap_M00_N00_M01_N01ILi128ELi128ES12_Lb0EEELb0ELb1EEEvPKT0_S25_PT1_T2_T3_T4_T5_
	.globl	_ZN2ck19kernel_gemm_dl_v1r3INS_28GridwiseGemmDl_km_kn_mn_v1r3ILi256EaiaLNS_25InMemoryDataOperationEnumE0ENS_16TensorDescriptorINS_5TupleIJNS_5EmbedINS4_IJiiEEENS4_IJNS_17integral_constantIiLi1EEEiEEELb0EEENS_7UnMergeINS4_IJiNS7_IiLi4EEEEEELb0EEENS_11PassThroughIiEEEEENS4_IJNS_8SequenceIJLi0EEEENSI_IJLi2EEEENSI_IJLi1EEEEEEENS4_IJNSI_IJLi1ELi2EEEENSI_IJLi3ELi4EEEENSI_IJLi5EEEEEEENSI_IJLi3ELi5ELi4EEEElEENS3_INS4_IJNS5_IS6_NS4_IJiS8_EEELb0EEESE_SG_EEENS4_IJSJ_SL_SK_EEESQ_SR_lEENS3_INS4_IJSU_SG_SG_EEESW_NS4_IJSN_NSI_IJLi3EEEENSI_IJLi4EEEEEEESO_lEELi128ELi128ELi16ELi4ELi4ELi4ELi1ENSI_IJLi8ELi2EEEES13_NSI_IJLi2ELi1ELi4ELi4EEEENSI_IJLi8ELi1ELi32ELi1EEEENSI_IJLi0ELi3ELi1ELi2EEEES16_NSI_IJLi1ELi1ELi4ELi1EEEES16_NSI_IJLi1ELi1ELi4ELi4EEEES14_S15_S16_S16_S17_S16_S18_NSI_IJLi0ELi1ELi2ELi3ELi4ELi5EEEELi5ELi4EEEaaNS3_INS4_IJSA_SE_SG_SG_NSB_INS4_IJiNS7_IiLi128EEEEEELb0EEENSF_ISC_EEEEENS4_IJSJ_SK_SL_SZ_SP_S10_EEENS4_IJSN_SO_SP_NSI_IJLi6EEEENSI_IJLi7ELi8EEEENSI_IJLi9EEEEEEENSI_IJLi6ELi7ELi8ELi9EEEElEENS3_INS4_IJSU_SE_SG_SG_S1D_S1E_EEENS4_IJSJ_SL_SK_SZ_SP_S10_EEES1K_S1L_lEENS3_INS4_IJSU_SG_SG_NSB_INS4_IJiNS7_IiLi2EEENS7_IiLi64EEEEEELb0EEES1T_EEENS4_IJSJ_SL_SK_SZ_S10_EEENS4_IJSN_SZ_S10_NSI_IJLi5ELi6ELi7EEEENSI_IJLi8ELi9ELi10EEEEEEENSI_IJLi5ELi6ELi7ELi8ELi9ELi10EEEElEENS_31BlockToCTileMap_M00_N00_M01_N01ILi128ELi128ES12_Lb0EEELb0ELb1EEEvPKT0_S25_PT1_T2_T3_T4_T5_
	.p2align	8
	.type	_ZN2ck19kernel_gemm_dl_v1r3INS_28GridwiseGemmDl_km_kn_mn_v1r3ILi256EaiaLNS_25InMemoryDataOperationEnumE0ENS_16TensorDescriptorINS_5TupleIJNS_5EmbedINS4_IJiiEEENS4_IJNS_17integral_constantIiLi1EEEiEEELb0EEENS_7UnMergeINS4_IJiNS7_IiLi4EEEEEELb0EEENS_11PassThroughIiEEEEENS4_IJNS_8SequenceIJLi0EEEENSI_IJLi2EEEENSI_IJLi1EEEEEEENS4_IJNSI_IJLi1ELi2EEEENSI_IJLi3ELi4EEEENSI_IJLi5EEEEEEENSI_IJLi3ELi5ELi4EEEElEENS3_INS4_IJNS5_IS6_NS4_IJiS8_EEELb0EEESE_SG_EEENS4_IJSJ_SL_SK_EEESQ_SR_lEENS3_INS4_IJSU_SG_SG_EEESW_NS4_IJSN_NSI_IJLi3EEEENSI_IJLi4EEEEEEESO_lEELi128ELi128ELi16ELi4ELi4ELi4ELi1ENSI_IJLi8ELi2EEEES13_NSI_IJLi2ELi1ELi4ELi4EEEENSI_IJLi8ELi1ELi32ELi1EEEENSI_IJLi0ELi3ELi1ELi2EEEES16_NSI_IJLi1ELi1ELi4ELi1EEEES16_NSI_IJLi1ELi1ELi4ELi4EEEES14_S15_S16_S16_S17_S16_S18_NSI_IJLi0ELi1ELi2ELi3ELi4ELi5EEEELi5ELi4EEEaaNS3_INS4_IJSA_SE_SG_SG_NSB_INS4_IJiNS7_IiLi128EEEEEELb0EEENSF_ISC_EEEEENS4_IJSJ_SK_SL_SZ_SP_S10_EEENS4_IJSN_SO_SP_NSI_IJLi6EEEENSI_IJLi7ELi8EEEENSI_IJLi9EEEEEEENSI_IJLi6ELi7ELi8ELi9EEEElEENS3_INS4_IJSU_SE_SG_SG_S1D_S1E_EEENS4_IJSJ_SL_SK_SZ_SP_S10_EEES1K_S1L_lEENS3_INS4_IJSU_SG_SG_NSB_INS4_IJiNS7_IiLi2EEENS7_IiLi64EEEEEELb0EEES1T_EEENS4_IJSJ_SL_SK_SZ_S10_EEENS4_IJSN_SZ_S10_NSI_IJLi5ELi6ELi7EEEENSI_IJLi8ELi9ELi10EEEEEEENSI_IJLi5ELi6ELi7ELi8ELi9ELi10EEEElEENS_31BlockToCTileMap_M00_N00_M01_N01ILi128ELi128ES12_Lb0EEELb0ELb1EEEvPKT0_S25_PT1_T2_T3_T4_T5_,@function
_ZN2ck19kernel_gemm_dl_v1r3INS_28GridwiseGemmDl_km_kn_mn_v1r3ILi256EaiaLNS_25InMemoryDataOperationEnumE0ENS_16TensorDescriptorINS_5TupleIJNS_5EmbedINS4_IJiiEEENS4_IJNS_17integral_constantIiLi1EEEiEEELb0EEENS_7UnMergeINS4_IJiNS7_IiLi4EEEEEELb0EEENS_11PassThroughIiEEEEENS4_IJNS_8SequenceIJLi0EEEENSI_IJLi2EEEENSI_IJLi1EEEEEEENS4_IJNSI_IJLi1ELi2EEEENSI_IJLi3ELi4EEEENSI_IJLi5EEEEEEENSI_IJLi3ELi5ELi4EEEElEENS3_INS4_IJNS5_IS6_NS4_IJiS8_EEELb0EEESE_SG_EEENS4_IJSJ_SL_SK_EEESQ_SR_lEENS3_INS4_IJSU_SG_SG_EEESW_NS4_IJSN_NSI_IJLi3EEEENSI_IJLi4EEEEEEESO_lEELi128ELi128ELi16ELi4ELi4ELi4ELi1ENSI_IJLi8ELi2EEEES13_NSI_IJLi2ELi1ELi4ELi4EEEENSI_IJLi8ELi1ELi32ELi1EEEENSI_IJLi0ELi3ELi1ELi2EEEES16_NSI_IJLi1ELi1ELi4ELi1EEEES16_NSI_IJLi1ELi1ELi4ELi4EEEES14_S15_S16_S16_S17_S16_S18_NSI_IJLi0ELi1ELi2ELi3ELi4ELi5EEEELi5ELi4EEEaaNS3_INS4_IJSA_SE_SG_SG_NSB_INS4_IJiNS7_IiLi128EEEEEELb0EEENSF_ISC_EEEEENS4_IJSJ_SK_SL_SZ_SP_S10_EEENS4_IJSN_SO_SP_NSI_IJLi6EEEENSI_IJLi7ELi8EEEENSI_IJLi9EEEEEEENSI_IJLi6ELi7ELi8ELi9EEEElEENS3_INS4_IJSU_SE_SG_SG_S1D_S1E_EEENS4_IJSJ_SL_SK_SZ_SP_S10_EEES1K_S1L_lEENS3_INS4_IJSU_SG_SG_NSB_INS4_IJiNS7_IiLi2EEENS7_IiLi64EEEEEELb0EEES1T_EEENS4_IJSJ_SL_SK_SZ_S10_EEENS4_IJSN_SZ_S10_NSI_IJLi5ELi6ELi7EEEENSI_IJLi8ELi9ELi10EEEEEEENSI_IJLi5ELi6ELi7ELi8ELi9ELi10EEEElEENS_31BlockToCTileMap_M00_N00_M01_N01ILi128ELi128ES12_Lb0EEELb0ELb1EEEvPKT0_S25_PT1_T2_T3_T4_T5_: ; @_ZN2ck19kernel_gemm_dl_v1r3INS_28GridwiseGemmDl_km_kn_mn_v1r3ILi256EaiaLNS_25InMemoryDataOperationEnumE0ENS_16TensorDescriptorINS_5TupleIJNS_5EmbedINS4_IJiiEEENS4_IJNS_17integral_constantIiLi1EEEiEEELb0EEENS_7UnMergeINS4_IJiNS7_IiLi4EEEEEELb0EEENS_11PassThroughIiEEEEENS4_IJNS_8SequenceIJLi0EEEENSI_IJLi2EEEENSI_IJLi1EEEEEEENS4_IJNSI_IJLi1ELi2EEEENSI_IJLi3ELi4EEEENSI_IJLi5EEEEEEENSI_IJLi3ELi5ELi4EEEElEENS3_INS4_IJNS5_IS6_NS4_IJiS8_EEELb0EEESE_SG_EEENS4_IJSJ_SL_SK_EEESQ_SR_lEENS3_INS4_IJSU_SG_SG_EEESW_NS4_IJSN_NSI_IJLi3EEEENSI_IJLi4EEEEEEESO_lEELi128ELi128ELi16ELi4ELi4ELi4ELi1ENSI_IJLi8ELi2EEEES13_NSI_IJLi2ELi1ELi4ELi4EEEENSI_IJLi8ELi1ELi32ELi1EEEENSI_IJLi0ELi3ELi1ELi2EEEES16_NSI_IJLi1ELi1ELi4ELi1EEEES16_NSI_IJLi1ELi1ELi4ELi4EEEES14_S15_S16_S16_S17_S16_S18_NSI_IJLi0ELi1ELi2ELi3ELi4ELi5EEEELi5ELi4EEEaaNS3_INS4_IJSA_SE_SG_SG_NSB_INS4_IJiNS7_IiLi128EEEEEELb0EEENSF_ISC_EEEEENS4_IJSJ_SK_SL_SZ_SP_S10_EEENS4_IJSN_SO_SP_NSI_IJLi6EEEENSI_IJLi7ELi8EEEENSI_IJLi9EEEEEEENSI_IJLi6ELi7ELi8ELi9EEEElEENS3_INS4_IJSU_SE_SG_SG_S1D_S1E_EEENS4_IJSJ_SL_SK_SZ_SP_S10_EEES1K_S1L_lEENS3_INS4_IJSU_SG_SG_NSB_INS4_IJiNS7_IiLi2EEENS7_IiLi64EEEEEELb0EEES1T_EEENS4_IJSJ_SL_SK_SZ_S10_EEENS4_IJSN_SZ_S10_NSI_IJLi5ELi6ELi7EEEENSI_IJLi8ELi9ELi10EEEEEEENSI_IJLi5ELi6ELi7ELi8ELi9ELi10EEEElEENS_31BlockToCTileMap_M00_N00_M01_N01ILi128ELi128ES12_Lb0EEELb0ELb1EEEvPKT0_S25_PT1_T2_T3_T4_T5_
; %bb.0:
	s_load_dwordx4 s[16:19], s[0:1], 0x0
	s_load_dwordx2 s[4:5], s[0:1], 0x10
	s_load_dwordx4 s[20:23], s[0:1], 0x108
	s_load_dwordx4 s[28:31], s[0:1], 0x11c
	;; [unrolled: 1-line block ×3, first 2 shown]
	s_load_dword s7, s[0:1], 0x24
	s_load_dword s10, s[0:1], 0x50
	;; [unrolled: 1-line block ×8, first 2 shown]
	s_waitcnt lgkmcnt(0)
	s_mul_hi_u32 s0, s31, s2
	s_add_i32 s0, s2, s0
	s_lshr_b32 s0, s0, s39
	s_mul_hi_u32 s1, s0, s30
	s_add_i32 s1, s0, s1
	s_lshr_b32 s13, s1, s38
	;; [unrolled: 3-line block ×4, first 2 shown]
	s_mul_i32 s9, s9, s20
	s_mul_i32 s1, s13, s22
	s_sub_i32 s9, s15, s9
	s_sub_i32 s1, s0, s1
	s_mul_i32 s9, s9, s8
	v_lshrrev_b32_e32 v1, 4, v0
	s_add_i32 s1, s1, s9
	v_and_b32_e32 v6, 14, v1
	v_lshlrev_b32_e32 v1, 2, v0
	v_and_b32_e32 v7, 0x7c, v1
	s_lshl_b32 s1, s1, 7
	v_or_b32_e32 v2, s1, v7
	v_lshlrev_b32_e32 v8, 2, v6
	v_mad_u64_u32 v[4:5], s[8:9], s7, v8, v[2:3]
	v_lshrrev_b32_e32 v2, 5, v0
	v_lshlrev_b32_e32 v0, 1, v0
	v_and_b32_e32 v5, 0x1f8, v0
	v_and_b32_e32 v0, 0x1fc, v0
	v_lshlrev_b32_e32 v3, 6, v2
	v_sub_u32_e32 v0, v0, v5
	v_sub_u32_e32 v3, v5, v3
	v_lshl_add_u32 v35, v2, 3, v0
	v_mov_b32_e32 v34, 0
	v_and_or_b32 v37, v1, 4, v3
	v_lshlrev_b32_e32 v0, 2, v35
	v_mov_b32_e32 v1, v34
	v_mov_b32_e32 v2, v35
	s_mov_b32 s28, 0
	scratch_store_dwordx3 off, v[0:2], off offset:80
	v_mov_b32_e32 v3, v35
	s_mov_b32 s30, s28
	v_mov_b32_e32 v0, v34
	v_mov_b32_e32 v2, v34
	scratch_store_dwordx4 off, v[0:3], off offset:92
	s_mov_b32 s31, s28
	v_mov_b32_e32 v36, v34
	v_lshlrev_b32_e32 v1, 2, v37
	v_mov_b32_e32 v3, v37
	scratch_store_dwordx4 off, v[0:3], off offset:108
	s_mov_b32 s29, s28
	v_mov_b64_e32 v[40:41], s[30:31]
	v_mov_b32_e32 v1, v34
	s_mov_b64 s[8:9], src_shared_base
	scratch_store_dwordx4 off, v[34:37], off offset:64
	scratch_store_dwordx4 off, v[0:3], off offset:124
	scratch_store_dword off, v34, off offset:140
	v_mov_b64_e32 v[38:39], s[28:29]
	v_mov_b32_e32 v1, s9
	scratch_store_dwordx4 off, v[38:41], off offset:144
	scratch_store_dwordx4 off, v[38:41], off offset:160
	;; [unrolled: 1-line block ×16, first 2 shown]
	scratch_store_dwordx2 off, v[0:1], off offset:400
	scratch_store_byte off, v34, off offset:409
	v_mov_b32_e32 v0, 0x4000
	scratch_store_dwordx2 off, v[0:1], off offset:416
	scratch_store_byte off, v34, off offset:425
	v_mov_b32_e32 v0, 0x2000
	;; [unrolled: 3-line block ×3, first 2 shown]
	scratch_store_dwordx2 off, v[0:1], off offset:448
	scratch_store_byte off, v34, off offset:457
	s_mov_b32 s11, 0x20000
	s_mov_b32 s8, s16
	;; [unrolled: 1-line block ×3, first 2 shown]
	v_add_u32_e32 v1, s7, v4
	buffer_load_dword v2, v4, s[8:11], 0 offen
	buffer_load_dword v3, v1, s[8:11], 0 offen
	s_mul_i32 s0, s0, s23
	s_mul_i32 s15, s15, s21
	s_sub_i32 s0, s2, s0
	s_sub_i32 s2, s13, s15
	v_add_u32_e32 v0, s7, v1
	v_add_u32_e32 v5, s7, v0
	buffer_load_dword v9, v0, s[8:11], 0 offen
	buffer_load_dword v10, v5, s[8:11], 0 offen
	s_mul_i32 s2, s2, s12
	s_add_i32 s0, s0, s2
	s_lshl_b32 s2, s7, 2
	v_add_u32_e32 v5, s2, v5
	v_add_u32_e32 v11, s2, v0
	buffer_load_dword v12, v5, s[8:11], 0 offen
	buffer_load_dword v13, v11, s[8:11], 0 offen
	s_lshl_b32 s16, s0, 7
	v_or_b32_e32 v0, s16, v7
	v_add_u32_e32 v14, s2, v1
	v_add_u32_e32 v4, s2, v4
	buffer_load_dword v15, v14, s[8:11], 0 offen
	buffer_load_dword v16, v4, s[8:11], 0 offen
	v_mad_u64_u32 v[0:1], s[12:13], s3, v8, v[0:1]
	s_mov_b32 s12, s18
	s_mov_b32 s13, s19
	;; [unrolled: 1-line block ×3, first 2 shown]
	v_add_u32_e32 v1, s3, v0
	s_nop 0
	buffer_load_dword v8, v0, s[12:15], 0 offen
	buffer_load_dword v17, v1, s[12:15], 0 offen
	v_add_u32_e32 v18, s3, v1
	v_add_u32_e32 v19, s3, v18
	buffer_load_dword v20, v18, s[12:15], 0 offen
	buffer_load_dword v21, v19, s[12:15], 0 offen
	s_lshl_b32 s18, s3, 2
	v_add_u32_e32 v19, s18, v19
	v_add_u32_e32 v18, s18, v18
	buffer_load_dword v22, v19, s[12:15], 0 offen
	buffer_load_dword v23, v18, s[12:15], 0 offen
	v_add_u32_e32 v24, s18, v1
	v_add_u32_e32 v25, s18, v0
	buffer_load_dword v26, v24, s[12:15], 0 offen
	buffer_load_dword v27, v25, s[12:15], 0 offen
	s_movk_i32 s17, 0xff00
	v_lshlrev_b32_e32 v0, 2, v7
	s_movk_i32 s0, 0xff
	v_mov_b32_e32 v32, 8
	v_lshl_or_b32 v42, v6, 9, v0
	s_mul_i32 s19, s7, 60
	s_movk_i32 s32, 0x1e0
	s_waitcnt vmcnt(15)
	v_and_b32_sdwa v0, v2, s0 dst_sel:DWORD dst_unused:UNUSED_PAD src0_sel:WORD_1 src1_sel:DWORD
	s_waitcnt vmcnt(14)
	v_and_b32_sdwa v1, v3, s17 dst_sel:DWORD dst_unused:UNUSED_PAD src0_sel:WORD_1 src1_sel:DWORD
	v_or_b32_sdwa v6, v2, v1 dst_sel:DWORD dst_unused:UNUSED_PAD src0_sel:BYTE_3 src1_sel:DWORD
	v_lshlrev_b16_sdwa v1, v32, v3 dst_sel:DWORD dst_unused:UNUSED_PAD src0_sel:DWORD src1_sel:WORD_1
	v_or_b32_e32 v7, v0, v1
	v_and_b32_e32 v0, 0xffffff00, v3
	v_or_b32_sdwa v1, v2, v0 dst_sel:DWORD dst_unused:UNUSED_PAD src0_sel:BYTE_1 src1_sel:DWORD
	s_waitcnt vmcnt(13)
	v_and_b32_sdwa v0, v9, s0 dst_sel:DWORD dst_unused:UNUSED_PAD src0_sel:WORD_1 src1_sel:DWORD
	s_waitcnt vmcnt(12)
	v_lshlrev_b16_sdwa v29, v32, v10 dst_sel:DWORD dst_unused:UNUSED_PAD src0_sel:DWORD src1_sel:WORD_1
	v_or_b32_sdwa v29, v0, v29 dst_sel:WORD_1 dst_unused:UNUSED_PAD src0_sel:DWORD src1_sel:DWORD
	v_and_b32_e32 v0, 0xffffff00, v10
	v_or_b32_sdwa v30, v9, v0 dst_sel:WORD_1 dst_unused:UNUSED_PAD src0_sel:BYTE_1 src1_sel:DWORD
	v_and_b32_sdwa v28, v10, s17 dst_sel:DWORD dst_unused:UNUSED_PAD src0_sel:WORD_1 src1_sel:DWORD
	s_waitcnt vmcnt(11)
	v_and_b32_sdwa v0, v12, s17 dst_sel:DWORD dst_unused:UNUSED_PAD src0_sel:WORD_1 src1_sel:DWORD
	s_waitcnt vmcnt(10)
	v_or_b32_sdwa v31, v13, v0 dst_sel:WORD_1 dst_unused:UNUSED_PAD src0_sel:BYTE_3 src1_sel:DWORD
	v_lshlrev_b16_sdwa v0, v32, v12 dst_sel:DWORD dst_unused:UNUSED_PAD src0_sel:DWORD src1_sel:WORD_1
	v_and_b32_sdwa v33, v13, s0 dst_sel:DWORD dst_unused:UNUSED_PAD src0_sel:WORD_1 src1_sel:DWORD
	v_or_b32_sdwa v33, v33, v0 dst_sel:WORD_1 dst_unused:UNUSED_PAD src0_sel:DWORD src1_sel:DWORD
	v_and_b32_e32 v0, 0xffffff00, v12
	v_or_b32_sdwa v36, v13, v0 dst_sel:WORD_1 dst_unused:UNUSED_PAD src0_sel:BYTE_1 src1_sel:DWORD
	s_waitcnt vmcnt(9)
	v_and_b32_sdwa v0, v15, s17 dst_sel:DWORD dst_unused:UNUSED_PAD src0_sel:WORD_1 src1_sel:DWORD
	s_waitcnt vmcnt(8)
	v_or_b32_sdwa v43, v16, v0 dst_sel:DWORD dst_unused:UNUSED_PAD src0_sel:BYTE_3 src1_sel:DWORD
	v_lshlrev_b16_sdwa v0, v32, v15 dst_sel:DWORD dst_unused:UNUSED_PAD src0_sel:DWORD src1_sel:WORD_1
	v_and_b32_sdwa v44, v16, s0 dst_sel:DWORD dst_unused:UNUSED_PAD src0_sel:WORD_1 src1_sel:DWORD
	v_or_b32_e32 v44, v44, v0
	v_and_b32_e32 v0, 0xffffff00, v15
	v_or_b32_sdwa v45, v16, v0 dst_sel:DWORD dst_unused:UNUSED_PAD src0_sel:BYTE_1 src1_sel:DWORD
	s_waitcnt vmcnt(7)
	v_and_b32_sdwa v0, v8, s0 dst_sel:DWORD dst_unused:UNUSED_PAD src0_sel:WORD_1 src1_sel:DWORD
	s_waitcnt vmcnt(6)
	v_lshlrev_b16_sdwa v47, v32, v17 dst_sel:DWORD dst_unused:UNUSED_PAD src0_sel:DWORD src1_sel:WORD_1
	v_or_b32_e32 v47, v0, v47
	v_and_b32_e32 v0, 0xffffff00, v17
	v_or_b32_sdwa v48, v8, v0 dst_sel:DWORD dst_unused:UNUSED_PAD src0_sel:BYTE_1 src1_sel:DWORD
	s_waitcnt vmcnt(5)
	v_and_b32_sdwa v0, v20, s0 dst_sel:DWORD dst_unused:UNUSED_PAD src0_sel:WORD_1 src1_sel:DWORD
	s_waitcnt vmcnt(4)
	v_lshlrev_b16_sdwa v50, v32, v21 dst_sel:DWORD dst_unused:UNUSED_PAD src0_sel:DWORD src1_sel:WORD_1
	v_or_b32_sdwa v50, v0, v50 dst_sel:WORD_1 dst_unused:UNUSED_PAD src0_sel:DWORD src1_sel:DWORD
	v_and_b32_e32 v0, 0xffffff00, v21
	v_or_b32_sdwa v51, v20, v0 dst_sel:WORD_1 dst_unused:UNUSED_PAD src0_sel:BYTE_1 src1_sel:DWORD
	s_waitcnt vmcnt(3)
	v_and_b32_sdwa v0, v22, s17 dst_sel:DWORD dst_unused:UNUSED_PAD src0_sel:WORD_1 src1_sel:DWORD
	s_waitcnt vmcnt(2)
	v_or_b32_sdwa v52, v23, v0 dst_sel:WORD_1 dst_unused:UNUSED_PAD src0_sel:BYTE_3 src1_sel:DWORD
	v_lshlrev_b16_sdwa v0, v32, v22 dst_sel:DWORD dst_unused:UNUSED_PAD src0_sel:DWORD src1_sel:WORD_1
	v_and_b32_sdwa v53, v23, s0 dst_sel:DWORD dst_unused:UNUSED_PAD src0_sel:WORD_1 src1_sel:DWORD
	v_or_b32_sdwa v53, v53, v0 dst_sel:WORD_1 dst_unused:UNUSED_PAD src0_sel:DWORD src1_sel:DWORD
	v_and_b32_e32 v0, 0xffffff00, v22
	v_or_b32_sdwa v54, v23, v0 dst_sel:WORD_1 dst_unused:UNUSED_PAD src0_sel:BYTE_1 src1_sel:DWORD
	s_waitcnt vmcnt(1)
	v_and_b32_sdwa v0, v26, s17 dst_sel:DWORD dst_unused:UNUSED_PAD src0_sel:WORD_1 src1_sel:DWORD
	s_waitcnt vmcnt(0)
	v_or_b32_sdwa v55, v27, v0 dst_sel:DWORD dst_unused:UNUSED_PAD src0_sel:BYTE_3 src1_sel:DWORD
	v_lshlrev_b16_sdwa v0, v32, v26 dst_sel:DWORD dst_unused:UNUSED_PAD src0_sel:DWORD src1_sel:WORD_1
	v_and_b32_sdwa v56, v27, s0 dst_sel:DWORD dst_unused:UNUSED_PAD src0_sel:WORD_1 src1_sel:DWORD
	v_or_b32_e32 v56, v56, v0
	v_and_b32_e32 v0, 0xffffff00, v26
	v_or_b32_sdwa v57, v27, v0 dst_sel:DWORD dst_unused:UNUSED_PAD src0_sel:BYTE_1 src1_sel:DWORD
	v_lshlrev_b16_e32 v0, 8, v3
	v_or_b32_sdwa v0, v2, v0 dst_sel:DWORD dst_unused:UNUSED_PAD src0_sel:BYTE_0 src1_sel:DWORD
	v_lshlrev_b16_e32 v2, 8, v10
	v_or_b32_sdwa v28, v9, v28 dst_sel:WORD_1 dst_unused:UNUSED_PAD src0_sel:BYTE_3 src1_sel:DWORD
	v_or_b32_sdwa v2, v9, v2 dst_sel:WORD_1 dst_unused:UNUSED_PAD src0_sel:BYTE_0 src1_sel:DWORD
	v_or_b32_sdwa v1, v1, v30 dst_sel:DWORD dst_unused:UNUSED_PAD src0_sel:WORD_0 src1_sel:DWORD
	v_or_b32_sdwa v0, v0, v2 dst_sel:DWORD dst_unused:UNUSED_PAD src0_sel:WORD_0 src1_sel:DWORD
	;; [unrolled: 1-line block ×4, first 2 shown]
	ds_write_b128 v42, v[0:3]
	v_lshlrev_b16_e32 v0, 8, v15
	v_lshlrev_b16_e32 v1, 8, v12
	v_or_b32_sdwa v0, v16, v0 dst_sel:DWORD dst_unused:UNUSED_PAD src0_sel:BYTE_0 src1_sel:DWORD
	v_or_b32_sdwa v1, v13, v1 dst_sel:WORD_1 dst_unused:UNUSED_PAD src0_sel:BYTE_0 src1_sel:DWORD
	v_or_b32_sdwa v2, v44, v33 dst_sel:DWORD dst_unused:UNUSED_PAD src0_sel:WORD_0 src1_sel:DWORD
	v_or_b32_sdwa v0, v0, v1 dst_sel:DWORD dst_unused:UNUSED_PAD src0_sel:WORD_0 src1_sel:DWORD
	v_or_b32_sdwa v1, v45, v36 dst_sel:DWORD dst_unused:UNUSED_PAD src0_sel:WORD_0 src1_sel:DWORD
	v_or_b32_sdwa v3, v43, v31 dst_sel:DWORD dst_unused:UNUSED_PAD src0_sel:WORD_0 src1_sel:DWORD
	v_and_b32_sdwa v46, v17, s17 dst_sel:DWORD dst_unused:UNUSED_PAD src0_sel:WORD_1 src1_sel:DWORD
	v_and_b32_sdwa v49, v21, s17 dst_sel:DWORD dst_unused:UNUSED_PAD src0_sel:WORD_1 src1_sel:DWORD
	ds_write_b128 v42, v[0:3] offset:512
	v_lshlrev_b16_e32 v0, 8, v17
	v_lshlrev_b16_e32 v1, 8, v21
	v_or_b32_sdwa v46, v8, v46 dst_sel:DWORD dst_unused:UNUSED_PAD src0_sel:BYTE_3 src1_sel:DWORD
	v_or_b32_sdwa v49, v20, v49 dst_sel:WORD_1 dst_unused:UNUSED_PAD src0_sel:BYTE_3 src1_sel:DWORD
	v_or_b32_sdwa v0, v8, v0 dst_sel:DWORD dst_unused:UNUSED_PAD src0_sel:BYTE_0 src1_sel:DWORD
	v_or_b32_sdwa v1, v20, v1 dst_sel:WORD_1 dst_unused:UNUSED_PAD src0_sel:BYTE_0 src1_sel:DWORD
	v_or_b32_sdwa v2, v47, v50 dst_sel:DWORD dst_unused:UNUSED_PAD src0_sel:WORD_0 src1_sel:DWORD
	v_or_b32_sdwa v0, v0, v1 dst_sel:DWORD dst_unused:UNUSED_PAD src0_sel:WORD_0 src1_sel:DWORD
	;; [unrolled: 1-line block ×4, first 2 shown]
	ds_write_b128 v42, v[0:3] offset:16384
	v_lshlrev_b16_e32 v0, 8, v26
	v_lshlrev_b16_e32 v1, 8, v22
	v_or_b32_sdwa v0, v27, v0 dst_sel:DWORD dst_unused:UNUSED_PAD src0_sel:BYTE_0 src1_sel:DWORD
	v_or_b32_sdwa v1, v23, v1 dst_sel:WORD_1 dst_unused:UNUSED_PAD src0_sel:BYTE_0 src1_sel:DWORD
	v_or_b32_sdwa v2, v56, v53 dst_sel:DWORD dst_unused:UNUSED_PAD src0_sel:WORD_0 src1_sel:DWORD
	v_or_b32_sdwa v0, v0, v1 dst_sel:DWORD dst_unused:UNUSED_PAD src0_sel:WORD_0 src1_sel:DWORD
	;; [unrolled: 1-line block ×4, first 2 shown]
	ds_write_b128 v42, v[0:3] offset:16896
	v_add_u32_e32 v0, s19, v4
	s_waitcnt lgkmcnt(0)
	s_barrier
	v_add_u32_e32 v1, s19, v14
	buffer_load_dword v45, v0, s[8:11], 0 offen
	buffer_load_dword v62, v1, s[8:11], 0 offen
	v_add_u32_e32 v0, s19, v11
	buffer_load_dword v66, v0, s[8:11], 0 offen
	v_add_u32_e32 v0, s19, v5
	;; [unrolled: 2-line block ×3, first 2 shown]
	v_subrev_u32_e32 v1, s7, v0
	buffer_load_dword v64, v0, s[8:11], 0 offen
	buffer_load_dword v67, v1, s[8:11], 0 offen
	v_subrev_u32_e32 v0, s7, v1
	s_mul_i32 s2, s3, 60
	v_subrev_u32_e32 v1, s7, v0
	buffer_load_dword v65, v0, s[8:11], 0 offen
	buffer_load_dword v68, v1, s[8:11], 0 offen
	v_add_u32_e32 v0, s2, v25
	v_add_u32_e32 v1, s2, v24
	buffer_load_dword v36, v0, s[12:15], 0 offen
	buffer_load_dword v69, v1, s[12:15], 0 offen
	v_add_u32_e32 v0, s2, v18
	v_add_u32_e32 v1, s2, v19
	buffer_load_dword v44, v0, s[12:15], 0 offen
	buffer_load_dword v70, v1, s[12:15], 0 offen
	v_add_u32_e32 v0, s18, v1
	v_subrev_u32_e32 v1, s3, v0
	buffer_load_dword v71, v0, s[12:15], 0 offen
	buffer_load_dword v72, v1, s[12:15], 0 offen
	v_subrev_u32_e32 v0, s3, v1
	v_subrev_u32_e32 v1, s3, v0
	buffer_load_dword v73, v0, s[12:15], 0 offen
	buffer_load_dword v74, v1, s[12:15], 0 offen
	scratch_load_dword v33, off, off offset:80
	scratch_load_dword v54, off, off offset:112
	s_nop 0
	scratch_load_dwordx4 v[0:3], off, off offset:144
	scratch_load_dwordx4 v[4:7], off, off offset:176
	;; [unrolled: 1-line block ×3, first 2 shown]
	v_mov_b32_e32 v43, v34
	s_mov_b64 s[2:3], src_private_base
	s_getpc_b64 s[8:9]
	s_add_u32 s8, s8, _ZNK2ck6detail15static_for_implINS_8SequenceIJLi1ELi2ELi3ELi4ELi5ELi6ELi7ELi8ELi9ELi10ELi11ELi12ELi13ELi14ELi15EEEEEclIZNKS_80BlockwiseGemmDl_A_BK0_BM_BK1_B_BK0_BN_BK1_C_BM0_BM1_BN0_BN1_pipeline_BM0_2_BN0_2ILi256EaaiKNS_16TensorDescriptorINS_5TupleIJNS_5EmbedINS8_IJNS_17integral_constantIiLi16EEENSA_IiLi128EEENSA_IiLi4EEEEEENS8_IJNSA_IiLi512EEESD_NSA_IiLi1EEEEEELb0EEEEEENS8_IJNS2_IJLi0EEEEEEENS8_IJNS2_IJLi1ELi2ELi3EEEEEEESM_NSA_IlLl8192EEEEESQ_Li4ELi4ELi1ENS2_IJLi8ELi2EEEESR_Li4ELi4ELb0EE3RunINS7_INS8_IJNS_7UnMergeINS8_IJNSA_IiLi2EEESD_SV_SD_EEELb0EEEEEESL_NS8_IJNS2_IJLi1ELi2ELi3ELi4EEEEEEESZ_NSA_IlLl64EEEEENS_13DynamicBufferILNS_16AddressSpaceEnumE2EaSO_Lb1ELNS_22AmdBufferCoherenceEnumE0EiEES16_NS_12StaticBufferILS14_4EiLi64ELb1EEEEEvRKT_RKT0_RKT1_RT2_EUlS19_E_EEvS19_@rel32@lo+4
	s_addc_u32 s9, s9, _ZNK2ck6detail15static_for_implINS_8SequenceIJLi1ELi2ELi3ELi4ELi5ELi6ELi7ELi8ELi9ELi10ELi11ELi12ELi13ELi14ELi15EEEEEclIZNKS_80BlockwiseGemmDl_A_BK0_BM_BK1_B_BK0_BN_BK1_C_BM0_BM1_BN0_BN1_pipeline_BM0_2_BN0_2ILi256EaaiKNS_16TensorDescriptorINS_5TupleIJNS_5EmbedINS8_IJNS_17integral_constantIiLi16EEENSA_IiLi128EEENSA_IiLi4EEEEEENS8_IJNSA_IiLi512EEESD_NSA_IiLi1EEEEEELb0EEEEEENS8_IJNS2_IJLi0EEEEEEENS8_IJNS2_IJLi1ELi2ELi3EEEEEEESM_NSA_IlLl8192EEEEESQ_Li4ELi4ELi1ENS2_IJLi8ELi2EEEESR_Li4ELi4ELb0EE3RunINS7_INS8_IJNS_7UnMergeINS8_IJNSA_IiLi2EEESD_SV_SD_EEELb0EEEEEESL_NS8_IJNS2_IJLi1ELi2ELi3ELi4EEEEEEESZ_NSA_IlLl64EEEEENS_13DynamicBufferILNS_16AddressSpaceEnumE2EaSO_Lb1ELNS_22AmdBufferCoherenceEnumE0EiEES16_NS_12StaticBufferILS14_4EiLi64ELb1EEEEEvRKT_RKT0_RKT1_RT2_EUlS19_E_EEvS19_@rel32@hi+12
	s_waitcnt vmcnt(20)
	v_and_b32_sdwa v16, v45, s0 dst_sel:DWORD dst_unused:UNUSED_PAD src0_sel:WORD_1 src1_sel:DWORD
	s_waitcnt vmcnt(19)
	v_lshlrev_b16_sdwa v17, v32, v62 dst_sel:DWORD dst_unused:UNUSED_PAD src0_sel:DWORD src1_sel:WORD_1
	v_and_b32_sdwa v12, v62, s17 dst_sel:DWORD dst_unused:UNUSED_PAD src0_sel:WORD_1 src1_sel:DWORD
	v_or_b32_e32 v75, v16, v17
	v_and_b32_e32 v16, 0xffffff00, v62
	s_waitcnt vmcnt(17)
	v_and_b32_sdwa v21, v63, s17 dst_sel:DWORD dst_unused:UNUSED_PAD src0_sel:WORD_1 src1_sel:DWORD
	v_and_b32_e32 v24, 0xffffff00, v63
	v_and_b32_sdwa v20, v66, s0 dst_sel:DWORD dst_unused:UNUSED_PAD src0_sel:WORD_1 src1_sel:DWORD
	v_or_b32_sdwa v77, v66, v21 dst_sel:WORD_1 dst_unused:UNUSED_PAD src0_sel:BYTE_3 src1_sel:DWORD
	v_lshlrev_b16_sdwa v21, v32, v63 dst_sel:DWORD dst_unused:UNUSED_PAD src0_sel:DWORD src1_sel:WORD_1
	v_or_b32_sdwa v79, v66, v24 dst_sel:WORD_1 dst_unused:UNUSED_PAD src0_sel:BYTE_1 src1_sel:DWORD
	s_waitcnt vmcnt(16)
	v_and_b32_sdwa v24, v64, s17 dst_sel:DWORD dst_unused:UNUSED_PAD src0_sel:WORD_1 src1_sel:DWORD
	v_lshlrev_b16_sdwa v28, v32, v64 dst_sel:DWORD dst_unused:UNUSED_PAD src0_sel:DWORD src1_sel:WORD_1
	s_waitcnt vmcnt(15)
	v_and_b32_sdwa v29, v67, s0 dst_sel:DWORD dst_unused:UNUSED_PAD src0_sel:WORD_1 src1_sel:DWORD
	v_or_b32_sdwa v34, v45, v12 dst_sel:DWORD dst_unused:UNUSED_PAD src0_sel:BYTE_3 src1_sel:DWORD
	scratch_load_dwordx4 v[12:15], off, off offset:240
	v_or_b32_sdwa v76, v45, v16 dst_sel:DWORD dst_unused:UNUSED_PAD src0_sel:BYTE_1 src1_sel:DWORD
	scratch_load_dwordx4 v[16:19], off, off offset:160
	v_or_b32_sdwa v78, v20, v21 dst_sel:WORD_1 dst_unused:UNUSED_PAD src0_sel:DWORD src1_sel:DWORD
	scratch_load_dwordx4 v[20:23], off, off offset:192
	v_or_b32_sdwa v80, v67, v24 dst_sel:WORD_1 dst_unused:UNUSED_PAD src0_sel:BYTE_3 src1_sel:DWORD
	scratch_load_dwordx4 v[24:27], off, off offset:224
	v_or_b32_sdwa v81, v29, v28 dst_sel:WORD_1 dst_unused:UNUSED_PAD src0_sel:DWORD src1_sel:DWORD
	scratch_load_dwordx4 v[28:31], off, off offset:256
	v_and_b32_e32 v46, 0xffffff00, v64
	v_or_b32_sdwa v82, v67, v46 dst_sel:WORD_1 dst_unused:UNUSED_PAD src0_sel:BYTE_1 src1_sel:DWORD
	s_waitcnt vmcnt(19)
	v_and_b32_sdwa v46, v65, s17 dst_sel:DWORD dst_unused:UNUSED_PAD src0_sel:WORD_1 src1_sel:DWORD
	s_waitcnt vmcnt(18)
	v_or_b32_sdwa v83, v68, v46 dst_sel:DWORD dst_unused:UNUSED_PAD src0_sel:BYTE_3 src1_sel:DWORD
	v_lshlrev_b16_sdwa v46, v32, v65 dst_sel:DWORD dst_unused:UNUSED_PAD src0_sel:DWORD src1_sel:WORD_1
	v_and_b32_sdwa v47, v68, s0 dst_sel:DWORD dst_unused:UNUSED_PAD src0_sel:WORD_1 src1_sel:DWORD
	v_or_b32_e32 v84, v47, v46
	v_and_b32_e32 v46, 0xffffff00, v65
	s_waitcnt vmcnt(16)
	v_and_b32_sdwa v47, v69, s17 dst_sel:DWORD dst_unused:UNUSED_PAD src0_sel:WORD_1 src1_sel:DWORD
	v_or_b32_sdwa v85, v68, v46 dst_sel:DWORD dst_unused:UNUSED_PAD src0_sel:BYTE_1 src1_sel:DWORD
	v_and_b32_sdwa v46, v36, s0 dst_sel:DWORD dst_unused:UNUSED_PAD src0_sel:WORD_1 src1_sel:DWORD
	v_or_b32_sdwa v86, v36, v47 dst_sel:DWORD dst_unused:UNUSED_PAD src0_sel:BYTE_3 src1_sel:DWORD
	v_lshlrev_b16_sdwa v47, v32, v69 dst_sel:DWORD dst_unused:UNUSED_PAD src0_sel:DWORD src1_sel:WORD_1
	v_or_b32_e32 v87, v46, v47
	v_and_b32_e32 v46, 0xffffff00, v69
	s_waitcnt vmcnt(14)
	v_and_b32_sdwa v47, v70, s17 dst_sel:DWORD dst_unused:UNUSED_PAD src0_sel:WORD_1 src1_sel:DWORD
	v_or_b32_sdwa v88, v36, v46 dst_sel:DWORD dst_unused:UNUSED_PAD src0_sel:BYTE_1 src1_sel:DWORD
	v_and_b32_sdwa v46, v44, s0 dst_sel:DWORD dst_unused:UNUSED_PAD src0_sel:WORD_1 src1_sel:DWORD
	v_or_b32_sdwa v89, v44, v47 dst_sel:WORD_1 dst_unused:UNUSED_PAD src0_sel:BYTE_3 src1_sel:DWORD
	v_lshlrev_b16_sdwa v47, v32, v70 dst_sel:DWORD dst_unused:UNUSED_PAD src0_sel:DWORD src1_sel:WORD_1
	v_or_b32_sdwa v90, v46, v47 dst_sel:WORD_1 dst_unused:UNUSED_PAD src0_sel:DWORD src1_sel:DWORD
	v_and_b32_e32 v46, 0xffffff00, v70
	v_or_b32_sdwa v91, v44, v46 dst_sel:WORD_1 dst_unused:UNUSED_PAD src0_sel:BYTE_1 src1_sel:DWORD
	s_waitcnt vmcnt(13)
	v_and_b32_sdwa v46, v71, s17 dst_sel:DWORD dst_unused:UNUSED_PAD src0_sel:WORD_1 src1_sel:DWORD
	s_waitcnt vmcnt(12)
	v_or_b32_sdwa v92, v72, v46 dst_sel:WORD_1 dst_unused:UNUSED_PAD src0_sel:BYTE_3 src1_sel:DWORD
	v_lshlrev_b16_sdwa v46, v32, v71 dst_sel:DWORD dst_unused:UNUSED_PAD src0_sel:DWORD src1_sel:WORD_1
	v_and_b32_sdwa v47, v72, s0 dst_sel:DWORD dst_unused:UNUSED_PAD src0_sel:WORD_1 src1_sel:DWORD
	v_or_b32_sdwa v93, v47, v46 dst_sel:WORD_1 dst_unused:UNUSED_PAD src0_sel:DWORD src1_sel:DWORD
	v_and_b32_e32 v46, 0xffffff00, v71
	v_or_b32_sdwa v94, v72, v46 dst_sel:WORD_1 dst_unused:UNUSED_PAD src0_sel:BYTE_1 src1_sel:DWORD
	s_waitcnt vmcnt(11)
	v_and_b32_sdwa v46, v73, s17 dst_sel:DWORD dst_unused:UNUSED_PAD src0_sel:WORD_1 src1_sel:DWORD
	s_waitcnt vmcnt(10)
	v_or_b32_sdwa v95, v74, v46 dst_sel:DWORD dst_unused:UNUSED_PAD src0_sel:BYTE_3 src1_sel:DWORD
	v_lshlrev_b16_sdwa v32, v32, v73 dst_sel:DWORD dst_unused:UNUSED_PAD src0_sel:DWORD src1_sel:WORD_1
	v_and_b32_sdwa v46, v74, s0 dst_sel:DWORD dst_unused:UNUSED_PAD src0_sel:WORD_1 src1_sel:DWORD
	v_or_b32_e32 v96, v46, v32
	s_waitcnt vmcnt(9)
	ds_read_b128 v[46:49], v33
	s_waitcnt vmcnt(8)
	ds_read_b128 v[50:53], v54 offset:16384
	ds_read_b128 v[54:57], v54 offset:16640
	;; [unrolled: 1-line block ×3, first 2 shown]
	v_and_b32_e32 v32, 0xffffff00, v73
	s_waitcnt lgkmcnt(3)
	scratch_store_dwordx4 off, v[46:49], off
	s_waitcnt lgkmcnt(2)
	scratch_store_dwordx4 off, v[50:53], off offset:32
	s_waitcnt lgkmcnt(1)
	scratch_store_dwordx4 off, v[54:57], off offset:48
	;; [unrolled: 2-line block ×3, first 2 shown]
	s_waitcnt vmcnt(11)
	v_dot4c_i32_i8_e32 v0, v46, v50
	v_dot4c_i32_i8_e32 v1, v46, v51
	v_dot4c_i32_i8_e32 v2, v46, v52
	v_dot4c_i32_i8_e32 v3, v46, v53
	s_waitcnt vmcnt(10)
	v_dot4c_i32_i8_e32 v4, v47, v50
	v_dot4c_i32_i8_e32 v5, v47, v51
	v_dot4c_i32_i8_e32 v6, v47, v52
	v_dot4c_i32_i8_e32 v7, v47, v53
	;; [unrolled: 5-line block ×3, first 2 shown]
	scratch_store_dwordx4 off, v[0:3], off offset:144
	scratch_store_dwordx4 off, v[4:7], off offset:176
	v_or_b32_sdwa v97, v74, v32 dst_sel:DWORD dst_unused:UNUSED_PAD src0_sel:BYTE_1 src1_sel:DWORD
	scratch_store_dwordx4 off, v[8:11], off offset:208
	v_mov_b32_e32 v0, 64
	v_mov_b32_e32 v1, s3
	;; [unrolled: 1-line block ×12, first 2 shown]
	s_waitcnt vmcnt(11)
	v_dot4c_i32_i8_e32 v12, v49, v50
	v_dot4c_i32_i8_e32 v13, v49, v51
	v_dot4c_i32_i8_e32 v14, v49, v52
	v_dot4c_i32_i8_e32 v15, v49, v53
	s_waitcnt vmcnt(10)
	v_dot4c_i32_i8_e32 v16, v46, v54
	v_dot4c_i32_i8_e32 v17, v46, v55
	v_dot4c_i32_i8_e32 v18, v46, v56
	v_dot4c_i32_i8_e32 v19, v46, v57
	;; [unrolled: 5-line block ×5, first 2 shown]
	scratch_store_dwordx4 off, v[12:15], off offset:240
	scratch_store_dwordx4 off, v[16:19], off offset:160
	;; [unrolled: 1-line block ×5, first 2 shown]
	s_swappc_b64 s[30:31], s[8:9]
	scratch_load_dword v98, off, off offset:16
	scratch_load_dword v99, off, off offset:32
	scratch_load_dwordx4 v[0:3], off, off offset:272
	scratch_load_dwordx4 v[4:7], off, off offset:32
	;; [unrolled: 1-line block ×6, first 2 shown]
	scratch_load_dword v4, off, off offset:48
	scratch_load_dwordx4 v[24:27], off, off offset:288
	scratch_load_dwordx4 v[28:31], off, off offset:48
	;; [unrolled: 1-line block ×5, first 2 shown]
	scratch_load_dwordx2 v[32:33], off, off offset:432
	s_waitcnt vmcnt(10)
	v_lshlrev_b16_e32 v8, 8, v62
	s_waitcnt vmcnt(4)
	v_lshlrev_b16_e32 v28, 8, v63
	v_or_b32_sdwa v61, v34, v77 dst_sel:DWORD dst_unused:UNUSED_PAD src0_sel:WORD_0 src1_sel:DWORD
	v_lshlrev_b16_e32 v34, 8, v65
	v_lshlrev_b16_e32 v58, 8, v64
	v_or_b32_sdwa v8, v45, v8 dst_sel:DWORD dst_unused:UNUSED_PAD src0_sel:BYTE_0 src1_sel:DWORD
	v_or_b32_sdwa v28, v66, v28 dst_sel:WORD_1 dst_unused:UNUSED_PAD src0_sel:BYTE_0 src1_sel:DWORD
	v_or_b32_sdwa v34, v68, v34 dst_sel:DWORD dst_unused:UNUSED_PAD src0_sel:BYTE_0 src1_sel:DWORD
	v_or_b32_sdwa v45, v67, v58 dst_sel:WORD_1 dst_unused:UNUSED_PAD src0_sel:BYTE_0 src1_sel:DWORD
	v_or_b32_sdwa v59, v76, v79 dst_sel:DWORD dst_unused:UNUSED_PAD src0_sel:WORD_0 src1_sel:DWORD
	v_or_b32_sdwa v60, v75, v78 dst_sel:DWORD dst_unused:UNUSED_PAD src0_sel:WORD_0 src1_sel:DWORD
	;; [unrolled: 1-line block ×7, first 2 shown]
	v_dot4c_i32_i8_e32 v0, v98, v99
	v_dot4c_i32_i8_e32 v1, v98, v5
	;; [unrolled: 1-line block ×20, first 2 shown]
	s_waitcnt vmcnt(3)
	v_dot4c_i32_i8_e32 v46, v9, v4
	v_dot4c_i32_i8_e32 v47, v9, v29
	v_dot4c_i32_i8_e32 v48, v9, v30
	v_dot4c_i32_i8_e32 v49, v9, v31
	s_waitcnt vmcnt(2)
	v_dot4c_i32_i8_e32 v50, v10, v4
	v_dot4c_i32_i8_e32 v51, v10, v29
	v_dot4c_i32_i8_e32 v52, v10, v30
	v_dot4c_i32_i8_e32 v53, v10, v31
	;; [unrolled: 5-line block ×3, first 2 shown]
	s_waitcnt vmcnt(0)
	v_lshl_add_u64 v[4:5], v[32:33], 0, v[42:43]
	scratch_store_dwordx4 off, v[0:3], off offset:272
	scratch_store_dwordx4 off, v[12:15], off offset:304
	scratch_store_dwordx4 off, v[16:19], off offset:336
	scratch_store_dwordx4 off, v[20:23], off offset:368
	scratch_store_dwordx4 off, v[24:27], off offset:288
	scratch_store_dwordx4 off, v[46:49], off offset:320
	scratch_store_dwordx4 off, v[50:53], off offset:352
	scratch_store_dwordx4 off, v[54:57], off offset:384
	flat_store_dwordx4 v[4:5], v[58:61]
	flat_store_dwordx4 v[4:5], v[62:65] offset:512
	scratch_load_dwordx2 v[8:9], off, off offset:448
	v_lshlrev_b16_e32 v0, 8, v69
	v_lshlrev_b16_e32 v4, 8, v70
	;; [unrolled: 1-line block ×4, first 2 shown]
	v_or_b32_sdwa v0, v36, v0 dst_sel:DWORD dst_unused:UNUSED_PAD src0_sel:BYTE_0 src1_sel:DWORD
	v_or_b32_sdwa v4, v44, v4 dst_sel:WORD_1 dst_unused:UNUSED_PAD src0_sel:BYTE_0 src1_sel:DWORD
	v_or_b32_sdwa v10, v74, v10 dst_sel:DWORD dst_unused:UNUSED_PAD src0_sel:BYTE_0 src1_sel:DWORD
	v_or_b32_sdwa v11, v72, v11 dst_sel:WORD_1 dst_unused:UNUSED_PAD src0_sel:BYTE_0 src1_sel:DWORD
	v_or_b32_sdwa v1, v88, v91 dst_sel:DWORD dst_unused:UNUSED_PAD src0_sel:WORD_0 src1_sel:DWORD
	v_or_b32_sdwa v2, v87, v90 dst_sel:DWORD dst_unused:UNUSED_PAD src0_sel:WORD_0 src1_sel:DWORD
	v_or_b32_sdwa v3, v86, v89 dst_sel:DWORD dst_unused:UNUSED_PAD src0_sel:WORD_0 src1_sel:DWORD
	v_or_b32_sdwa v0, v0, v4 dst_sel:DWORD dst_unused:UNUSED_PAD src0_sel:WORD_0 src1_sel:DWORD
	v_or_b32_sdwa v4, v10, v11 dst_sel:DWORD dst_unused:UNUSED_PAD src0_sel:WORD_0 src1_sel:DWORD
	v_or_b32_sdwa v5, v97, v94 dst_sel:DWORD dst_unused:UNUSED_PAD src0_sel:WORD_0 src1_sel:DWORD
	v_or_b32_sdwa v6, v96, v93 dst_sel:DWORD dst_unused:UNUSED_PAD src0_sel:WORD_0 src1_sel:DWORD
	v_or_b32_sdwa v7, v95, v92 dst_sel:DWORD dst_unused:UNUSED_PAD src0_sel:WORD_0 src1_sel:DWORD
	s_waitcnt vmcnt(0)
	v_lshl_add_u64 v[10:11], v[8:9], 0, v[42:43]
	flat_store_dwordx4 v[10:11], v[0:3]
	flat_store_dwordx4 v[10:11], v[4:7] offset:512
	s_waitcnt lgkmcnt(0)
	s_barrier
	scratch_load_dword v0, off, off offset:80
	s_nop 0
	scratch_store_dwordx4 off, v[38:41], off
	scratch_store_dwordx4 off, v[38:41], off offset:16
	scratch_store_dwordx4 off, v[38:41], off offset:32
	;; [unrolled: 1-line block ×3, first 2 shown]
	scratch_load_dword v4, off, off offset:112
	s_waitcnt vmcnt(0)
	v_ashrrev_i32_e32 v1, 31, v0
	v_lshl_add_u64 v[32:33], v[32:33], 0, v[0:1]
	flat_load_dwordx4 v[0:3], v[32:33]
	v_ashrrev_i32_e32 v5, 31, v4
	v_lshl_add_u64 v[8:9], v[8:9], 0, v[4:5]
	s_waitcnt vmcnt(0) lgkmcnt(0)
	scratch_store_dwordx4 off, v[0:3], off
	flat_load_dwordx4 v[4:7], v[8:9]
	s_waitcnt vmcnt(0) lgkmcnt(0)
	scratch_store_dwordx4 off, v[4:7], off offset:32
	flat_load_dwordx4 v[8:11], v[8:9] offset:256
	s_nop 0
	scratch_load_dwordx4 v[12:15], off, off offset:144
	scratch_load_dwordx4 v[16:19], off, off offset:176
	;; [unrolled: 1-line block ×8, first 2 shown]
	s_waitcnt vmcnt(0)
	v_dot4c_i32_i8_e32 v12, v0, v4
	s_waitcnt lgkmcnt(0)
	scratch_store_dwordx4 off, v[8:11], off offset:48
	flat_load_dwordx4 v[50:53], v[32:33] offset:256
	v_dot4c_i32_i8_e32 v13, v0, v5
	v_dot4c_i32_i8_e32 v14, v0, v6
	;; [unrolled: 1-line block ×31, first 2 shown]
	v_mov_b32_e32 v0, 64
	v_mov_b32_e32 v1, s3
	;; [unrolled: 1-line block ×12, first 2 shown]
	scratch_store_dwordx4 off, v[12:15], off offset:144
	scratch_store_dwordx4 off, v[16:19], off offset:176
	;; [unrolled: 1-line block ×8, first 2 shown]
	s_waitcnt vmcnt(0) lgkmcnt(0)
	scratch_store_dwordx4 off, v[50:53], off offset:16
	s_swappc_b64 s[30:31], s[8:9]
	scratch_load_dword v36, off, off offset:16
	scratch_load_dword v78, off, off offset:32
	scratch_load_dwordx4 v[0:3], off, off offset:272
	scratch_load_dwordx4 v[16:19], off, off offset:32
	;; [unrolled: 1-line block ×6, first 2 shown]
	scratch_load_dword v4, off, off offset:48
	scratch_load_dwordx4 v[12:15], off, off offset:288
	scratch_load_dwordx4 v[28:31], off, off offset:352
	;; [unrolled: 1-line block ×12, first 2 shown]
	s_waitcnt vmcnt(17)
	v_add_u32_e32 v16, s1, v35
	v_mul_lo_u32 v16, v16, s24
	v_add3_u32 v37, s16, v37, v16
	s_waitcnt vmcnt(9)
	v_add_u32_e32 v38, s24, v37
	v_add_u32_e32 v80, s24, v38
	s_lshl_b32 s1, s24, 6
	v_add_u32_e32 v16, 64, v80
	v_add_u32_e32 v82, s24, v16
	;; [unrolled: 1-line block ×3, first 2 shown]
	scratch_load_dwordx4 v[32:35], off, off offset:240
	s_mov_b32 s0, 0xc0c0500
	v_add_u32_e32 v81, s24, v80
	s_mov_b32 s7, s11
	v_add_u32_e32 v83, s1, v81
	v_add_u32_e32 v79, 64, v38
	v_subrev_u32_e32 v85, 64, v84
	v_dot4c_i32_i8_e32 v12, v36, v4
	v_dot4c_i32_i8_e32 v13, v36, v39
	v_dot4c_i32_i8_e32 v0, v36, v78
	v_dot4c_i32_i8_e32 v1, v36, v17
	s_waitcnt vmcnt(9)
	v_dot4c_i32_i8_e32 v42, v7, v4
	v_dot4c_i32_i8_e32 v43, v7, v39
	;; [unrolled: 1-line block ×11, first 2 shown]
	scratch_store_dwordx4 off, v[24:27], off offset:368
	scratch_store_dwordx4 off, v[42:45], off offset:384
	v_dot4c_i32_i8_e32 v31, v6, v41
	v_dot4c_i32_i8_e32 v2, v36, v18
	;; [unrolled: 1-line block ×10, first 2 shown]
	scratch_load_dwordx4 v[16:19], off, off offset:368
	scratch_load_dwordx4 v[24:27], off, off offset:384
	v_dot4c_i32_i8_e32 v8, v5, v78
	scratch_store_dwordx4 off, v[28:31], off offset:352
	scratch_load_dwordx4 v[28:31], off, off offset:352
	s_waitcnt vmcnt(14)
	v_dot4c_i32_i8_e32 v46, v5, v4
	scratch_store_dwordx4 off, v[20:23], off offset:336
	scratch_load_dwordx4 v[20:23], off, off offset:336
	v_dot4c_i32_i8_e32 v47, v5, v39
	scratch_store_dwordx4 off, v[8:11], off offset:304
	v_dot4c_i32_i8_e32 v48, v5, v40
	v_dot4c_i32_i8_e32 v49, v5, v41
	scratch_load_dwordx4 v[4:7], off, off offset:304
	v_dot4c_i32_i8_e32 v14, v36, v40
	v_dot4c_i32_i8_e32 v15, v36, v41
	scratch_store_dwordx4 off, v[46:49], off offset:320
	scratch_load_dwordx4 v[8:11], off, off offset:320
	s_waitcnt vmcnt(19)
	v_lshlrev_b32_e32 v36, 8, v51
	scratch_store_dwordx4 off, v[12:15], off offset:288
	scratch_load_dwordx4 v[12:15], off, off offset:288
	v_lshlrev_b32_e32 v39, 16, v52
	scratch_store_dwordx4 off, v[0:3], off offset:272
	scratch_load_dwordx4 v[0:3], off, off offset:272
	v_lshlrev_b32_e32 v40, 24, v53
	s_waitcnt vmcnt(22)
	v_lshlrev_b32_e32 v41, 8, v55
	v_lshlrev_b32_e32 v42, 16, v56
	v_lshlrev_b32_e32 v43, 24, v57
	s_waitcnt vmcnt(21)
	v_lshlrev_b32_e32 v44, 8, v59
	v_lshlrev_b32_e32 v45, 16, v60
	;; [unrolled: 4-line block ×3, first 2 shown]
	s_waitcnt vmcnt(19)
	v_lshlrev_b32_e32 v56, 8, v67
	v_lshlrev_b32_e32 v57, 16, v68
	s_waitcnt vmcnt(18)
	v_lshlrev_b32_e32 v60, 8, v71
	v_lshlrev_b32_e32 v61, 16, v72
	;; [unrolled: 3-line block ×4, first 2 shown]
	v_and_b32_e32 v39, 0xff0000, v39
	v_perm_b32 v36, v36, v50, s0
	v_lshlrev_b32_e32 v55, 24, v65
	v_lshlrev_b32_e32 v59, 24, v69
	;; [unrolled: 1-line block ×5, first 2 shown]
	v_and_b32_e32 v42, 0xff0000, v42
	v_perm_b32 v41, v41, v54, s0
	v_and_b32_e32 v45, 0xff0000, v45
	v_perm_b32 v44, v44, v58, s0
	;; [unrolled: 2-line block ×7, first 2 shown]
	v_or3_b32 v33, v36, v39, v40
	v_or3_b32 v36, v41, v42, v43
	;; [unrolled: 1-line block ×8, first 2 shown]
	buffer_store_dword v33, v37, s[4:7], 0 offen
	buffer_store_dword v36, v37, s[4:7], 0 offen offset:64
	buffer_store_dword v39, v79, s[4:7], 0 offen
	buffer_store_dword v40, v38, s[4:7], 0 offen
	;; [unrolled: 1-line block ×3, first 2 shown]
	buffer_store_dword v42, v80, s[4:7], 0 offen offset:64
	buffer_store_dword v43, v82, s[4:7], 0 offen
	buffer_store_dword v32, v81, s[4:7], 0 offen
	s_waitcnt vmcnt(21)
	v_lshlrev_b32_e32 v17, 8, v17
	v_lshlrev_b32_e32 v18, 16, v18
	s_waitcnt vmcnt(20)
	v_lshlrev_b32_e32 v25, 8, v25
	v_lshlrev_b32_e32 v26, 16, v26
	;; [unrolled: 1-line block ×4, first 2 shown]
	s_waitcnt vmcnt(18)
	v_lshlrev_b32_e32 v29, 8, v29
	v_lshlrev_b32_e32 v30, 16, v30
	v_and_b32_e32 v18, 0xff0000, v18
	v_perm_b32 v16, v17, v16, s0
	v_and_b32_e32 v17, 0xff0000, v26
	v_perm_b32 v24, v25, v24, s0
	v_lshlrev_b32_e32 v31, 24, v31
	s_waitcnt vmcnt(16)
	v_lshlrev_b32_e32 v21, 8, v21
	v_lshlrev_b32_e32 v22, 16, v22
	v_and_b32_e32 v25, 0xff0000, v30
	v_perm_b32 v26, v29, v28, s0
	v_or3_b32 v16, v16, v18, v19
	v_or3_b32 v17, v24, v17, v27
	v_and_b32_e32 v22, 0xff0000, v22
	v_or3_b32 v18, v26, v25, v31
	buffer_store_dword v16, v83, s[4:7], 0 offen
	buffer_store_dword v17, v83, s[4:7], 0 offen offset:64
	buffer_store_dword v18, v84, s[4:7], 0 offen
	v_perm_b32 v16, v21, v20, s0
	v_lshlrev_b32_e32 v17, 24, v23
	s_waitcnt vmcnt(17)
	v_lshlrev_b32_e32 v5, 8, v5
	v_lshlrev_b32_e32 v6, 16, v6
	v_or3_b32 v16, v16, v22, v17
	v_and_b32_e32 v6, 0xff0000, v6
	v_perm_b32 v4, v5, v4, s0
	v_lshlrev_b32_e32 v5, 24, v7
	buffer_store_dword v16, v85, s[4:7], 0 offen
	v_subrev_u32_e32 v16, s24, v85
	v_or3_b32 v4, v4, v6, v5
	buffer_store_dword v4, v16, s[4:7], 0 offen
	s_waitcnt vmcnt(17)
	v_lshlrev_b32_e32 v4, 8, v9
	v_lshlrev_b32_e32 v5, 16, v10
	v_and_b32_e32 v5, 0xff0000, v5
	v_perm_b32 v4, v4, v8, s0
	v_lshlrev_b32_e32 v6, 24, v11
	v_or3_b32 v4, v4, v5, v6
	s_waitcnt vmcnt(15)
	v_lshlrev_b32_e32 v6, 8, v13
	v_lshlrev_b32_e32 v7, 16, v14
	s_waitcnt vmcnt(13)
	v_lshlrev_b32_e32 v1, 8, v1
	v_lshlrev_b32_e32 v2, 16, v2
	buffer_store_dword v4, v16, s[4:7], 0 offen offset:64
	v_subrev_u32_e32 v4, s24, v16
	v_and_b32_e32 v7, 0xff0000, v7
	v_perm_b32 v6, v6, v12, s0
	v_lshlrev_b32_e32 v8, 24, v15
	v_and_b32_e32 v2, 0xff0000, v2
	v_perm_b32 v0, v1, v0, s0
	v_lshlrev_b32_e32 v1, 24, v3
	v_add_u32_e32 v5, 64, v4
	v_or3_b32 v6, v6, v7, v8
	v_or3_b32 v0, v0, v2, v1
	buffer_store_dword v6, v5, s[4:7], 0 offen
	buffer_store_dword v0, v4, s[4:7], 0 offen
	s_endpgm
	.section	.rodata,"a",@progbits
	.p2align	6, 0x0
	.amdhsa_kernel _ZN2ck19kernel_gemm_dl_v1r3INS_28GridwiseGemmDl_km_kn_mn_v1r3ILi256EaiaLNS_25InMemoryDataOperationEnumE0ENS_16TensorDescriptorINS_5TupleIJNS_5EmbedINS4_IJiiEEENS4_IJNS_17integral_constantIiLi1EEEiEEELb0EEENS_7UnMergeINS4_IJiNS7_IiLi4EEEEEELb0EEENS_11PassThroughIiEEEEENS4_IJNS_8SequenceIJLi0EEEENSI_IJLi2EEEENSI_IJLi1EEEEEEENS4_IJNSI_IJLi1ELi2EEEENSI_IJLi3ELi4EEEENSI_IJLi5EEEEEEENSI_IJLi3ELi5ELi4EEEElEENS3_INS4_IJNS5_IS6_NS4_IJiS8_EEELb0EEESE_SG_EEENS4_IJSJ_SL_SK_EEESQ_SR_lEENS3_INS4_IJSU_SG_SG_EEESW_NS4_IJSN_NSI_IJLi3EEEENSI_IJLi4EEEEEEESO_lEELi128ELi128ELi16ELi4ELi4ELi4ELi1ENSI_IJLi8ELi2EEEES13_NSI_IJLi2ELi1ELi4ELi4EEEENSI_IJLi8ELi1ELi32ELi1EEEENSI_IJLi0ELi3ELi1ELi2EEEES16_NSI_IJLi1ELi1ELi4ELi1EEEES16_NSI_IJLi1ELi1ELi4ELi4EEEES14_S15_S16_S16_S17_S16_S18_NSI_IJLi0ELi1ELi2ELi3ELi4ELi5EEEELi5ELi4EEEaaNS3_INS4_IJSA_SE_SG_SG_NSB_INS4_IJiNS7_IiLi128EEEEEELb0EEENSF_ISC_EEEEENS4_IJSJ_SK_SL_SZ_SP_S10_EEENS4_IJSN_SO_SP_NSI_IJLi6EEEENSI_IJLi7ELi8EEEENSI_IJLi9EEEEEEENSI_IJLi6ELi7ELi8ELi9EEEElEENS3_INS4_IJSU_SE_SG_SG_S1D_S1E_EEENS4_IJSJ_SL_SK_SZ_SP_S10_EEES1K_S1L_lEENS3_INS4_IJSU_SG_SG_NSB_INS4_IJiNS7_IiLi2EEENS7_IiLi64EEEEEELb0EEES1T_EEENS4_IJSJ_SL_SK_SZ_S10_EEENS4_IJSN_SZ_S10_NSI_IJLi5ELi6ELi7EEEENSI_IJLi8ELi9ELi10EEEEEEENSI_IJLi5ELi6ELi7ELi8ELi9ELi10EEEElEENS_31BlockToCTileMap_M00_N00_M01_N01ILi128ELi128ES12_Lb0EEELb0ELb1EEEvPKT0_S25_PT1_T2_T3_T4_T5_
		.amdhsa_group_segment_fixed_size 32768
		.amdhsa_private_segment_fixed_size 480
		.amdhsa_kernarg_size 328
		.amdhsa_user_sgpr_count 2
		.amdhsa_user_sgpr_dispatch_ptr 0
		.amdhsa_user_sgpr_queue_ptr 0
		.amdhsa_user_sgpr_kernarg_segment_ptr 1
		.amdhsa_user_sgpr_dispatch_id 0
		.amdhsa_user_sgpr_kernarg_preload_length 0
		.amdhsa_user_sgpr_kernarg_preload_offset 0
		.amdhsa_user_sgpr_private_segment_size 0
		.amdhsa_uses_dynamic_stack 0
		.amdhsa_enable_private_segment 1
		.amdhsa_system_sgpr_workgroup_id_x 1
		.amdhsa_system_sgpr_workgroup_id_y 0
		.amdhsa_system_sgpr_workgroup_id_z 0
		.amdhsa_system_sgpr_workgroup_info 0
		.amdhsa_system_vgpr_workitem_id 0
		.amdhsa_next_free_vgpr 100
		.amdhsa_next_free_sgpr 40
		.amdhsa_accum_offset 100
		.amdhsa_reserve_vcc 1
		.amdhsa_float_round_mode_32 0
		.amdhsa_float_round_mode_16_64 0
		.amdhsa_float_denorm_mode_32 3
		.amdhsa_float_denorm_mode_16_64 3
		.amdhsa_dx10_clamp 1
		.amdhsa_ieee_mode 1
		.amdhsa_fp16_overflow 0
		.amdhsa_tg_split 0
		.amdhsa_exception_fp_ieee_invalid_op 0
		.amdhsa_exception_fp_denorm_src 0
		.amdhsa_exception_fp_ieee_div_zero 0
		.amdhsa_exception_fp_ieee_overflow 0
		.amdhsa_exception_fp_ieee_underflow 0
		.amdhsa_exception_fp_ieee_inexact 0
		.amdhsa_exception_int_div_zero 0
	.end_amdhsa_kernel
	.section	.text._ZN2ck19kernel_gemm_dl_v1r3INS_28GridwiseGemmDl_km_kn_mn_v1r3ILi256EaiaLNS_25InMemoryDataOperationEnumE0ENS_16TensorDescriptorINS_5TupleIJNS_5EmbedINS4_IJiiEEENS4_IJNS_17integral_constantIiLi1EEEiEEELb0EEENS_7UnMergeINS4_IJiNS7_IiLi4EEEEEELb0EEENS_11PassThroughIiEEEEENS4_IJNS_8SequenceIJLi0EEEENSI_IJLi2EEEENSI_IJLi1EEEEEEENS4_IJNSI_IJLi1ELi2EEEENSI_IJLi3ELi4EEEENSI_IJLi5EEEEEEENSI_IJLi3ELi5ELi4EEEElEENS3_INS4_IJNS5_IS6_NS4_IJiS8_EEELb0EEESE_SG_EEENS4_IJSJ_SL_SK_EEESQ_SR_lEENS3_INS4_IJSU_SG_SG_EEESW_NS4_IJSN_NSI_IJLi3EEEENSI_IJLi4EEEEEEESO_lEELi128ELi128ELi16ELi4ELi4ELi4ELi1ENSI_IJLi8ELi2EEEES13_NSI_IJLi2ELi1ELi4ELi4EEEENSI_IJLi8ELi1ELi32ELi1EEEENSI_IJLi0ELi3ELi1ELi2EEEES16_NSI_IJLi1ELi1ELi4ELi1EEEES16_NSI_IJLi1ELi1ELi4ELi4EEEES14_S15_S16_S16_S17_S16_S18_NSI_IJLi0ELi1ELi2ELi3ELi4ELi5EEEELi5ELi4EEEaaNS3_INS4_IJSA_SE_SG_SG_NSB_INS4_IJiNS7_IiLi128EEEEEELb0EEENSF_ISC_EEEEENS4_IJSJ_SK_SL_SZ_SP_S10_EEENS4_IJSN_SO_SP_NSI_IJLi6EEEENSI_IJLi7ELi8EEEENSI_IJLi9EEEEEEENSI_IJLi6ELi7ELi8ELi9EEEElEENS3_INS4_IJSU_SE_SG_SG_S1D_S1E_EEENS4_IJSJ_SL_SK_SZ_SP_S10_EEES1K_S1L_lEENS3_INS4_IJSU_SG_SG_NSB_INS4_IJiNS7_IiLi2EEENS7_IiLi64EEEEEELb0EEES1T_EEENS4_IJSJ_SL_SK_SZ_S10_EEENS4_IJSN_SZ_S10_NSI_IJLi5ELi6ELi7EEEENSI_IJLi8ELi9ELi10EEEEEEENSI_IJLi5ELi6ELi7ELi8ELi9ELi10EEEElEENS_31BlockToCTileMap_M00_N00_M01_N01ILi128ELi128ES12_Lb0EEELb0ELb1EEEvPKT0_S25_PT1_T2_T3_T4_T5_,"axG",@progbits,_ZN2ck19kernel_gemm_dl_v1r3INS_28GridwiseGemmDl_km_kn_mn_v1r3ILi256EaiaLNS_25InMemoryDataOperationEnumE0ENS_16TensorDescriptorINS_5TupleIJNS_5EmbedINS4_IJiiEEENS4_IJNS_17integral_constantIiLi1EEEiEEELb0EEENS_7UnMergeINS4_IJiNS7_IiLi4EEEEEELb0EEENS_11PassThroughIiEEEEENS4_IJNS_8SequenceIJLi0EEEENSI_IJLi2EEEENSI_IJLi1EEEEEEENS4_IJNSI_IJLi1ELi2EEEENSI_IJLi3ELi4EEEENSI_IJLi5EEEEEEENSI_IJLi3ELi5ELi4EEEElEENS3_INS4_IJNS5_IS6_NS4_IJiS8_EEELb0EEESE_SG_EEENS4_IJSJ_SL_SK_EEESQ_SR_lEENS3_INS4_IJSU_SG_SG_EEESW_NS4_IJSN_NSI_IJLi3EEEENSI_IJLi4EEEEEEESO_lEELi128ELi128ELi16ELi4ELi4ELi4ELi1ENSI_IJLi8ELi2EEEES13_NSI_IJLi2ELi1ELi4ELi4EEEENSI_IJLi8ELi1ELi32ELi1EEEENSI_IJLi0ELi3ELi1ELi2EEEES16_NSI_IJLi1ELi1ELi4ELi1EEEES16_NSI_IJLi1ELi1ELi4ELi4EEEES14_S15_S16_S16_S17_S16_S18_NSI_IJLi0ELi1ELi2ELi3ELi4ELi5EEEELi5ELi4EEEaaNS3_INS4_IJSA_SE_SG_SG_NSB_INS4_IJiNS7_IiLi128EEEEEELb0EEENSF_ISC_EEEEENS4_IJSJ_SK_SL_SZ_SP_S10_EEENS4_IJSN_SO_SP_NSI_IJLi6EEEENSI_IJLi7ELi8EEEENSI_IJLi9EEEEEEENSI_IJLi6ELi7ELi8ELi9EEEElEENS3_INS4_IJSU_SE_SG_SG_S1D_S1E_EEENS4_IJSJ_SL_SK_SZ_SP_S10_EEES1K_S1L_lEENS3_INS4_IJSU_SG_SG_NSB_INS4_IJiNS7_IiLi2EEENS7_IiLi64EEEEEELb0EEES1T_EEENS4_IJSJ_SL_SK_SZ_S10_EEENS4_IJSN_SZ_S10_NSI_IJLi5ELi6ELi7EEEENSI_IJLi8ELi9ELi10EEEEEEENSI_IJLi5ELi6ELi7ELi8ELi9ELi10EEEElEENS_31BlockToCTileMap_M00_N00_M01_N01ILi128ELi128ES12_Lb0EEELb0ELb1EEEvPKT0_S25_PT1_T2_T3_T4_T5_,comdat
.Lfunc_end4:
	.size	_ZN2ck19kernel_gemm_dl_v1r3INS_28GridwiseGemmDl_km_kn_mn_v1r3ILi256EaiaLNS_25InMemoryDataOperationEnumE0ENS_16TensorDescriptorINS_5TupleIJNS_5EmbedINS4_IJiiEEENS4_IJNS_17integral_constantIiLi1EEEiEEELb0EEENS_7UnMergeINS4_IJiNS7_IiLi4EEEEEELb0EEENS_11PassThroughIiEEEEENS4_IJNS_8SequenceIJLi0EEEENSI_IJLi2EEEENSI_IJLi1EEEEEEENS4_IJNSI_IJLi1ELi2EEEENSI_IJLi3ELi4EEEENSI_IJLi5EEEEEEENSI_IJLi3ELi5ELi4EEEElEENS3_INS4_IJNS5_IS6_NS4_IJiS8_EEELb0EEESE_SG_EEENS4_IJSJ_SL_SK_EEESQ_SR_lEENS3_INS4_IJSU_SG_SG_EEESW_NS4_IJSN_NSI_IJLi3EEEENSI_IJLi4EEEEEEESO_lEELi128ELi128ELi16ELi4ELi4ELi4ELi1ENSI_IJLi8ELi2EEEES13_NSI_IJLi2ELi1ELi4ELi4EEEENSI_IJLi8ELi1ELi32ELi1EEEENSI_IJLi0ELi3ELi1ELi2EEEES16_NSI_IJLi1ELi1ELi4ELi1EEEES16_NSI_IJLi1ELi1ELi4ELi4EEEES14_S15_S16_S16_S17_S16_S18_NSI_IJLi0ELi1ELi2ELi3ELi4ELi5EEEELi5ELi4EEEaaNS3_INS4_IJSA_SE_SG_SG_NSB_INS4_IJiNS7_IiLi128EEEEEELb0EEENSF_ISC_EEEEENS4_IJSJ_SK_SL_SZ_SP_S10_EEENS4_IJSN_SO_SP_NSI_IJLi6EEEENSI_IJLi7ELi8EEEENSI_IJLi9EEEEEEENSI_IJLi6ELi7ELi8ELi9EEEElEENS3_INS4_IJSU_SE_SG_SG_S1D_S1E_EEENS4_IJSJ_SL_SK_SZ_SP_S10_EEES1K_S1L_lEENS3_INS4_IJSU_SG_SG_NSB_INS4_IJiNS7_IiLi2EEENS7_IiLi64EEEEEELb0EEES1T_EEENS4_IJSJ_SL_SK_SZ_S10_EEENS4_IJSN_SZ_S10_NSI_IJLi5ELi6ELi7EEEENSI_IJLi8ELi9ELi10EEEEEEENSI_IJLi5ELi6ELi7ELi8ELi9ELi10EEEElEENS_31BlockToCTileMap_M00_N00_M01_N01ILi128ELi128ES12_Lb0EEELb0ELb1EEEvPKT0_S25_PT1_T2_T3_T4_T5_, .Lfunc_end4-_ZN2ck19kernel_gemm_dl_v1r3INS_28GridwiseGemmDl_km_kn_mn_v1r3ILi256EaiaLNS_25InMemoryDataOperationEnumE0ENS_16TensorDescriptorINS_5TupleIJNS_5EmbedINS4_IJiiEEENS4_IJNS_17integral_constantIiLi1EEEiEEELb0EEENS_7UnMergeINS4_IJiNS7_IiLi4EEEEEELb0EEENS_11PassThroughIiEEEEENS4_IJNS_8SequenceIJLi0EEEENSI_IJLi2EEEENSI_IJLi1EEEEEEENS4_IJNSI_IJLi1ELi2EEEENSI_IJLi3ELi4EEEENSI_IJLi5EEEEEEENSI_IJLi3ELi5ELi4EEEElEENS3_INS4_IJNS5_IS6_NS4_IJiS8_EEELb0EEESE_SG_EEENS4_IJSJ_SL_SK_EEESQ_SR_lEENS3_INS4_IJSU_SG_SG_EEESW_NS4_IJSN_NSI_IJLi3EEEENSI_IJLi4EEEEEEESO_lEELi128ELi128ELi16ELi4ELi4ELi4ELi1ENSI_IJLi8ELi2EEEES13_NSI_IJLi2ELi1ELi4ELi4EEEENSI_IJLi8ELi1ELi32ELi1EEEENSI_IJLi0ELi3ELi1ELi2EEEES16_NSI_IJLi1ELi1ELi4ELi1EEEES16_NSI_IJLi1ELi1ELi4ELi4EEEES14_S15_S16_S16_S17_S16_S18_NSI_IJLi0ELi1ELi2ELi3ELi4ELi5EEEELi5ELi4EEEaaNS3_INS4_IJSA_SE_SG_SG_NSB_INS4_IJiNS7_IiLi128EEEEEELb0EEENSF_ISC_EEEEENS4_IJSJ_SK_SL_SZ_SP_S10_EEENS4_IJSN_SO_SP_NSI_IJLi6EEEENSI_IJLi7ELi8EEEENSI_IJLi9EEEEEEENSI_IJLi6ELi7ELi8ELi9EEEElEENS3_INS4_IJSU_SE_SG_SG_S1D_S1E_EEENS4_IJSJ_SL_SK_SZ_SP_S10_EEES1K_S1L_lEENS3_INS4_IJSU_SG_SG_NSB_INS4_IJiNS7_IiLi2EEENS7_IiLi64EEEEEELb0EEES1T_EEENS4_IJSJ_SL_SK_SZ_S10_EEENS4_IJSN_SZ_S10_NSI_IJLi5ELi6ELi7EEEENSI_IJLi8ELi9ELi10EEEEEEENSI_IJLi5ELi6ELi7ELi8ELi9ELi10EEEElEENS_31BlockToCTileMap_M00_N00_M01_N01ILi128ELi128ES12_Lb0EEELb0ELb1EEEvPKT0_S25_PT1_T2_T3_T4_T5_
                                        ; -- End function
	.section	.AMDGPU.csdata,"",@progbits
; Kernel info:
; codeLenInByte = 5256
; NumSgprs: 46
; NumVgprs: 100
; NumAgprs: 0
; TotalNumVgprs: 100
; ScratchSize: 480
; MemoryBound: 0
; FloatMode: 240
; IeeeMode: 1
; LDSByteSize: 32768 bytes/workgroup (compile time only)
; SGPRBlocks: 5
; VGPRBlocks: 12
; NumSGPRsForWavesPerEU: 46
; NumVGPRsForWavesPerEU: 100
; AccumOffset: 100
; Occupancy: 2
; WaveLimiterHint : 1
; COMPUTE_PGM_RSRC2:SCRATCH_EN: 1
; COMPUTE_PGM_RSRC2:USER_SGPR: 2
; COMPUTE_PGM_RSRC2:TRAP_HANDLER: 0
; COMPUTE_PGM_RSRC2:TGID_X_EN: 1
; COMPUTE_PGM_RSRC2:TGID_Y_EN: 0
; COMPUTE_PGM_RSRC2:TGID_Z_EN: 0
; COMPUTE_PGM_RSRC2:TIDIG_COMP_CNT: 0
; COMPUTE_PGM_RSRC3_GFX90A:ACCUM_OFFSET: 24
; COMPUTE_PGM_RSRC3_GFX90A:TG_SPLIT: 0
	.section	.text._ZN2ck19kernel_gemm_dl_v1r3INS_28GridwiseGemmDl_km_kn_mn_v1r3ILi256EaiaLNS_25InMemoryDataOperationEnumE0ENS_16TensorDescriptorINS_5TupleIJNS_5EmbedINS4_IJiiEEENS4_IJNS_17integral_constantIiLi1EEEiEEELb0EEENS_7UnMergeINS4_IJiNS7_IiLi4EEEEEELb0EEENS_11PassThroughIiEEEEENS4_IJNS_8SequenceIJLi0EEEENSI_IJLi2EEEENSI_IJLi1EEEEEEENS4_IJNSI_IJLi1ELi2EEEENSI_IJLi3ELi4EEEENSI_IJLi5EEEEEEENSI_IJLi3ELi5ELi4EEEElEENS3_INS4_IJNS5_IS6_NS4_IJiS8_EEELb0EEESE_SG_EEENS4_IJSJ_SL_SK_EEESQ_SR_lEENS3_INS4_IJSU_SG_SG_EEESW_NS4_IJSN_NSI_IJLi3EEEENSI_IJLi4EEEEEEESO_lEELi128ELi128ELi16ELi4ELi4ELi4ELi1ENSI_IJLi8ELi2EEEES13_NSI_IJLi2ELi1ELi4ELi4EEEENSI_IJLi8ELi1ELi32ELi1EEEENSI_IJLi0ELi3ELi1ELi2EEEES16_NSI_IJLi1ELi1ELi4ELi1EEEES16_NSI_IJLi1ELi1ELi4ELi4EEEES14_S15_S16_S16_S17_S16_S18_NSI_IJLi0ELi1ELi2ELi3ELi4ELi5EEEELi5ELi4EEEaaNS3_INS4_IJSA_SE_SG_SG_NSB_INS4_IJiNS7_IiLi128EEEEEELb0EEENSF_ISC_EEEEENS4_IJSJ_SK_SL_SZ_SP_S10_EEENS4_IJSN_SO_SP_NSI_IJLi6EEEENSI_IJLi7ELi8EEEENSI_IJLi9EEEEEEENSI_IJLi6ELi7ELi8ELi9EEEElEENS3_INS4_IJSU_SE_SG_SG_S1D_S1E_EEENS4_IJSJ_SL_SK_SZ_SP_S10_EEES1K_S1L_lEENS3_INS4_IJSU_SG_SG_NSB_INS4_IJiNS7_IiLi2EEENS7_IiLi64EEEEEELb0EEES1T_EEENS4_IJSJ_SL_SK_SZ_S10_EEENS4_IJSN_SZ_S10_NSI_IJLi5ELi6ELi7EEEENSI_IJLi8ELi9ELi10EEEEEEENSI_IJLi5ELi6ELi7ELi8ELi9ELi10EEEElEENS_31BlockToCTileMap_M00_N00_M01_N01ILi128ELi128ES12_Lb0EEELb0ELb0EEEvPKT0_S25_PT1_T2_T3_T4_T5_,"axG",@progbits,_ZN2ck19kernel_gemm_dl_v1r3INS_28GridwiseGemmDl_km_kn_mn_v1r3ILi256EaiaLNS_25InMemoryDataOperationEnumE0ENS_16TensorDescriptorINS_5TupleIJNS_5EmbedINS4_IJiiEEENS4_IJNS_17integral_constantIiLi1EEEiEEELb0EEENS_7UnMergeINS4_IJiNS7_IiLi4EEEEEELb0EEENS_11PassThroughIiEEEEENS4_IJNS_8SequenceIJLi0EEEENSI_IJLi2EEEENSI_IJLi1EEEEEEENS4_IJNSI_IJLi1ELi2EEEENSI_IJLi3ELi4EEEENSI_IJLi5EEEEEEENSI_IJLi3ELi5ELi4EEEElEENS3_INS4_IJNS5_IS6_NS4_IJiS8_EEELb0EEESE_SG_EEENS4_IJSJ_SL_SK_EEESQ_SR_lEENS3_INS4_IJSU_SG_SG_EEESW_NS4_IJSN_NSI_IJLi3EEEENSI_IJLi4EEEEEEESO_lEELi128ELi128ELi16ELi4ELi4ELi4ELi1ENSI_IJLi8ELi2EEEES13_NSI_IJLi2ELi1ELi4ELi4EEEENSI_IJLi8ELi1ELi32ELi1EEEENSI_IJLi0ELi3ELi1ELi2EEEES16_NSI_IJLi1ELi1ELi4ELi1EEEES16_NSI_IJLi1ELi1ELi4ELi4EEEES14_S15_S16_S16_S17_S16_S18_NSI_IJLi0ELi1ELi2ELi3ELi4ELi5EEEELi5ELi4EEEaaNS3_INS4_IJSA_SE_SG_SG_NSB_INS4_IJiNS7_IiLi128EEEEEELb0EEENSF_ISC_EEEEENS4_IJSJ_SK_SL_SZ_SP_S10_EEENS4_IJSN_SO_SP_NSI_IJLi6EEEENSI_IJLi7ELi8EEEENSI_IJLi9EEEEEEENSI_IJLi6ELi7ELi8ELi9EEEElEENS3_INS4_IJSU_SE_SG_SG_S1D_S1E_EEENS4_IJSJ_SL_SK_SZ_SP_S10_EEES1K_S1L_lEENS3_INS4_IJSU_SG_SG_NSB_INS4_IJiNS7_IiLi2EEENS7_IiLi64EEEEEELb0EEES1T_EEENS4_IJSJ_SL_SK_SZ_S10_EEENS4_IJSN_SZ_S10_NSI_IJLi5ELi6ELi7EEEENSI_IJLi8ELi9ELi10EEEEEEENSI_IJLi5ELi6ELi7ELi8ELi9ELi10EEEElEENS_31BlockToCTileMap_M00_N00_M01_N01ILi128ELi128ES12_Lb0EEELb0ELb0EEEvPKT0_S25_PT1_T2_T3_T4_T5_,comdat
	.protected	_ZN2ck19kernel_gemm_dl_v1r3INS_28GridwiseGemmDl_km_kn_mn_v1r3ILi256EaiaLNS_25InMemoryDataOperationEnumE0ENS_16TensorDescriptorINS_5TupleIJNS_5EmbedINS4_IJiiEEENS4_IJNS_17integral_constantIiLi1EEEiEEELb0EEENS_7UnMergeINS4_IJiNS7_IiLi4EEEEEELb0EEENS_11PassThroughIiEEEEENS4_IJNS_8SequenceIJLi0EEEENSI_IJLi2EEEENSI_IJLi1EEEEEEENS4_IJNSI_IJLi1ELi2EEEENSI_IJLi3ELi4EEEENSI_IJLi5EEEEEEENSI_IJLi3ELi5ELi4EEEElEENS3_INS4_IJNS5_IS6_NS4_IJiS8_EEELb0EEESE_SG_EEENS4_IJSJ_SL_SK_EEESQ_SR_lEENS3_INS4_IJSU_SG_SG_EEESW_NS4_IJSN_NSI_IJLi3EEEENSI_IJLi4EEEEEEESO_lEELi128ELi128ELi16ELi4ELi4ELi4ELi1ENSI_IJLi8ELi2EEEES13_NSI_IJLi2ELi1ELi4ELi4EEEENSI_IJLi8ELi1ELi32ELi1EEEENSI_IJLi0ELi3ELi1ELi2EEEES16_NSI_IJLi1ELi1ELi4ELi1EEEES16_NSI_IJLi1ELi1ELi4ELi4EEEES14_S15_S16_S16_S17_S16_S18_NSI_IJLi0ELi1ELi2ELi3ELi4ELi5EEEELi5ELi4EEEaaNS3_INS4_IJSA_SE_SG_SG_NSB_INS4_IJiNS7_IiLi128EEEEEELb0EEENSF_ISC_EEEEENS4_IJSJ_SK_SL_SZ_SP_S10_EEENS4_IJSN_SO_SP_NSI_IJLi6EEEENSI_IJLi7ELi8EEEENSI_IJLi9EEEEEEENSI_IJLi6ELi7ELi8ELi9EEEElEENS3_INS4_IJSU_SE_SG_SG_S1D_S1E_EEENS4_IJSJ_SL_SK_SZ_SP_S10_EEES1K_S1L_lEENS3_INS4_IJSU_SG_SG_NSB_INS4_IJiNS7_IiLi2EEENS7_IiLi64EEEEEELb0EEES1T_EEENS4_IJSJ_SL_SK_SZ_S10_EEENS4_IJSN_SZ_S10_NSI_IJLi5ELi6ELi7EEEENSI_IJLi8ELi9ELi10EEEEEEENSI_IJLi5ELi6ELi7ELi8ELi9ELi10EEEElEENS_31BlockToCTileMap_M00_N00_M01_N01ILi128ELi128ES12_Lb0EEELb0ELb0EEEvPKT0_S25_PT1_T2_T3_T4_T5_ ; -- Begin function _ZN2ck19kernel_gemm_dl_v1r3INS_28GridwiseGemmDl_km_kn_mn_v1r3ILi256EaiaLNS_25InMemoryDataOperationEnumE0ENS_16TensorDescriptorINS_5TupleIJNS_5EmbedINS4_IJiiEEENS4_IJNS_17integral_constantIiLi1EEEiEEELb0EEENS_7UnMergeINS4_IJiNS7_IiLi4EEEEEELb0EEENS_11PassThroughIiEEEEENS4_IJNS_8SequenceIJLi0EEEENSI_IJLi2EEEENSI_IJLi1EEEEEEENS4_IJNSI_IJLi1ELi2EEEENSI_IJLi3ELi4EEEENSI_IJLi5EEEEEEENSI_IJLi3ELi5ELi4EEEElEENS3_INS4_IJNS5_IS6_NS4_IJiS8_EEELb0EEESE_SG_EEENS4_IJSJ_SL_SK_EEESQ_SR_lEENS3_INS4_IJSU_SG_SG_EEESW_NS4_IJSN_NSI_IJLi3EEEENSI_IJLi4EEEEEEESO_lEELi128ELi128ELi16ELi4ELi4ELi4ELi1ENSI_IJLi8ELi2EEEES13_NSI_IJLi2ELi1ELi4ELi4EEEENSI_IJLi8ELi1ELi32ELi1EEEENSI_IJLi0ELi3ELi1ELi2EEEES16_NSI_IJLi1ELi1ELi4ELi1EEEES16_NSI_IJLi1ELi1ELi4ELi4EEEES14_S15_S16_S16_S17_S16_S18_NSI_IJLi0ELi1ELi2ELi3ELi4ELi5EEEELi5ELi4EEEaaNS3_INS4_IJSA_SE_SG_SG_NSB_INS4_IJiNS7_IiLi128EEEEEELb0EEENSF_ISC_EEEEENS4_IJSJ_SK_SL_SZ_SP_S10_EEENS4_IJSN_SO_SP_NSI_IJLi6EEEENSI_IJLi7ELi8EEEENSI_IJLi9EEEEEEENSI_IJLi6ELi7ELi8ELi9EEEElEENS3_INS4_IJSU_SE_SG_SG_S1D_S1E_EEENS4_IJSJ_SL_SK_SZ_SP_S10_EEES1K_S1L_lEENS3_INS4_IJSU_SG_SG_NSB_INS4_IJiNS7_IiLi2EEENS7_IiLi64EEEEEELb0EEES1T_EEENS4_IJSJ_SL_SK_SZ_S10_EEENS4_IJSN_SZ_S10_NSI_IJLi5ELi6ELi7EEEENSI_IJLi8ELi9ELi10EEEEEEENSI_IJLi5ELi6ELi7ELi8ELi9ELi10EEEElEENS_31BlockToCTileMap_M00_N00_M01_N01ILi128ELi128ES12_Lb0EEELb0ELb0EEEvPKT0_S25_PT1_T2_T3_T4_T5_
	.globl	_ZN2ck19kernel_gemm_dl_v1r3INS_28GridwiseGemmDl_km_kn_mn_v1r3ILi256EaiaLNS_25InMemoryDataOperationEnumE0ENS_16TensorDescriptorINS_5TupleIJNS_5EmbedINS4_IJiiEEENS4_IJNS_17integral_constantIiLi1EEEiEEELb0EEENS_7UnMergeINS4_IJiNS7_IiLi4EEEEEELb0EEENS_11PassThroughIiEEEEENS4_IJNS_8SequenceIJLi0EEEENSI_IJLi2EEEENSI_IJLi1EEEEEEENS4_IJNSI_IJLi1ELi2EEEENSI_IJLi3ELi4EEEENSI_IJLi5EEEEEEENSI_IJLi3ELi5ELi4EEEElEENS3_INS4_IJNS5_IS6_NS4_IJiS8_EEELb0EEESE_SG_EEENS4_IJSJ_SL_SK_EEESQ_SR_lEENS3_INS4_IJSU_SG_SG_EEESW_NS4_IJSN_NSI_IJLi3EEEENSI_IJLi4EEEEEEESO_lEELi128ELi128ELi16ELi4ELi4ELi4ELi1ENSI_IJLi8ELi2EEEES13_NSI_IJLi2ELi1ELi4ELi4EEEENSI_IJLi8ELi1ELi32ELi1EEEENSI_IJLi0ELi3ELi1ELi2EEEES16_NSI_IJLi1ELi1ELi4ELi1EEEES16_NSI_IJLi1ELi1ELi4ELi4EEEES14_S15_S16_S16_S17_S16_S18_NSI_IJLi0ELi1ELi2ELi3ELi4ELi5EEEELi5ELi4EEEaaNS3_INS4_IJSA_SE_SG_SG_NSB_INS4_IJiNS7_IiLi128EEEEEELb0EEENSF_ISC_EEEEENS4_IJSJ_SK_SL_SZ_SP_S10_EEENS4_IJSN_SO_SP_NSI_IJLi6EEEENSI_IJLi7ELi8EEEENSI_IJLi9EEEEEEENSI_IJLi6ELi7ELi8ELi9EEEElEENS3_INS4_IJSU_SE_SG_SG_S1D_S1E_EEENS4_IJSJ_SL_SK_SZ_SP_S10_EEES1K_S1L_lEENS3_INS4_IJSU_SG_SG_NSB_INS4_IJiNS7_IiLi2EEENS7_IiLi64EEEEEELb0EEES1T_EEENS4_IJSJ_SL_SK_SZ_S10_EEENS4_IJSN_SZ_S10_NSI_IJLi5ELi6ELi7EEEENSI_IJLi8ELi9ELi10EEEEEEENSI_IJLi5ELi6ELi7ELi8ELi9ELi10EEEElEENS_31BlockToCTileMap_M00_N00_M01_N01ILi128ELi128ES12_Lb0EEELb0ELb0EEEvPKT0_S25_PT1_T2_T3_T4_T5_
	.p2align	8
	.type	_ZN2ck19kernel_gemm_dl_v1r3INS_28GridwiseGemmDl_km_kn_mn_v1r3ILi256EaiaLNS_25InMemoryDataOperationEnumE0ENS_16TensorDescriptorINS_5TupleIJNS_5EmbedINS4_IJiiEEENS4_IJNS_17integral_constantIiLi1EEEiEEELb0EEENS_7UnMergeINS4_IJiNS7_IiLi4EEEEEELb0EEENS_11PassThroughIiEEEEENS4_IJNS_8SequenceIJLi0EEEENSI_IJLi2EEEENSI_IJLi1EEEEEEENS4_IJNSI_IJLi1ELi2EEEENSI_IJLi3ELi4EEEENSI_IJLi5EEEEEEENSI_IJLi3ELi5ELi4EEEElEENS3_INS4_IJNS5_IS6_NS4_IJiS8_EEELb0EEESE_SG_EEENS4_IJSJ_SL_SK_EEESQ_SR_lEENS3_INS4_IJSU_SG_SG_EEESW_NS4_IJSN_NSI_IJLi3EEEENSI_IJLi4EEEEEEESO_lEELi128ELi128ELi16ELi4ELi4ELi4ELi1ENSI_IJLi8ELi2EEEES13_NSI_IJLi2ELi1ELi4ELi4EEEENSI_IJLi8ELi1ELi32ELi1EEEENSI_IJLi0ELi3ELi1ELi2EEEES16_NSI_IJLi1ELi1ELi4ELi1EEEES16_NSI_IJLi1ELi1ELi4ELi4EEEES14_S15_S16_S16_S17_S16_S18_NSI_IJLi0ELi1ELi2ELi3ELi4ELi5EEEELi5ELi4EEEaaNS3_INS4_IJSA_SE_SG_SG_NSB_INS4_IJiNS7_IiLi128EEEEEELb0EEENSF_ISC_EEEEENS4_IJSJ_SK_SL_SZ_SP_S10_EEENS4_IJSN_SO_SP_NSI_IJLi6EEEENSI_IJLi7ELi8EEEENSI_IJLi9EEEEEEENSI_IJLi6ELi7ELi8ELi9EEEElEENS3_INS4_IJSU_SE_SG_SG_S1D_S1E_EEENS4_IJSJ_SL_SK_SZ_SP_S10_EEES1K_S1L_lEENS3_INS4_IJSU_SG_SG_NSB_INS4_IJiNS7_IiLi2EEENS7_IiLi64EEEEEELb0EEES1T_EEENS4_IJSJ_SL_SK_SZ_S10_EEENS4_IJSN_SZ_S10_NSI_IJLi5ELi6ELi7EEEENSI_IJLi8ELi9ELi10EEEEEEENSI_IJLi5ELi6ELi7ELi8ELi9ELi10EEEElEENS_31BlockToCTileMap_M00_N00_M01_N01ILi128ELi128ES12_Lb0EEELb0ELb0EEEvPKT0_S25_PT1_T2_T3_T4_T5_,@function
_ZN2ck19kernel_gemm_dl_v1r3INS_28GridwiseGemmDl_km_kn_mn_v1r3ILi256EaiaLNS_25InMemoryDataOperationEnumE0ENS_16TensorDescriptorINS_5TupleIJNS_5EmbedINS4_IJiiEEENS4_IJNS_17integral_constantIiLi1EEEiEEELb0EEENS_7UnMergeINS4_IJiNS7_IiLi4EEEEEELb0EEENS_11PassThroughIiEEEEENS4_IJNS_8SequenceIJLi0EEEENSI_IJLi2EEEENSI_IJLi1EEEEEEENS4_IJNSI_IJLi1ELi2EEEENSI_IJLi3ELi4EEEENSI_IJLi5EEEEEEENSI_IJLi3ELi5ELi4EEEElEENS3_INS4_IJNS5_IS6_NS4_IJiS8_EEELb0EEESE_SG_EEENS4_IJSJ_SL_SK_EEESQ_SR_lEENS3_INS4_IJSU_SG_SG_EEESW_NS4_IJSN_NSI_IJLi3EEEENSI_IJLi4EEEEEEESO_lEELi128ELi128ELi16ELi4ELi4ELi4ELi1ENSI_IJLi8ELi2EEEES13_NSI_IJLi2ELi1ELi4ELi4EEEENSI_IJLi8ELi1ELi32ELi1EEEENSI_IJLi0ELi3ELi1ELi2EEEES16_NSI_IJLi1ELi1ELi4ELi1EEEES16_NSI_IJLi1ELi1ELi4ELi4EEEES14_S15_S16_S16_S17_S16_S18_NSI_IJLi0ELi1ELi2ELi3ELi4ELi5EEEELi5ELi4EEEaaNS3_INS4_IJSA_SE_SG_SG_NSB_INS4_IJiNS7_IiLi128EEEEEELb0EEENSF_ISC_EEEEENS4_IJSJ_SK_SL_SZ_SP_S10_EEENS4_IJSN_SO_SP_NSI_IJLi6EEEENSI_IJLi7ELi8EEEENSI_IJLi9EEEEEEENSI_IJLi6ELi7ELi8ELi9EEEElEENS3_INS4_IJSU_SE_SG_SG_S1D_S1E_EEENS4_IJSJ_SL_SK_SZ_SP_S10_EEES1K_S1L_lEENS3_INS4_IJSU_SG_SG_NSB_INS4_IJiNS7_IiLi2EEENS7_IiLi64EEEEEELb0EEES1T_EEENS4_IJSJ_SL_SK_SZ_S10_EEENS4_IJSN_SZ_S10_NSI_IJLi5ELi6ELi7EEEENSI_IJLi8ELi9ELi10EEEEEEENSI_IJLi5ELi6ELi7ELi8ELi9ELi10EEEElEENS_31BlockToCTileMap_M00_N00_M01_N01ILi128ELi128ES12_Lb0EEELb0ELb0EEEvPKT0_S25_PT1_T2_T3_T4_T5_: ; @_ZN2ck19kernel_gemm_dl_v1r3INS_28GridwiseGemmDl_km_kn_mn_v1r3ILi256EaiaLNS_25InMemoryDataOperationEnumE0ENS_16TensorDescriptorINS_5TupleIJNS_5EmbedINS4_IJiiEEENS4_IJNS_17integral_constantIiLi1EEEiEEELb0EEENS_7UnMergeINS4_IJiNS7_IiLi4EEEEEELb0EEENS_11PassThroughIiEEEEENS4_IJNS_8SequenceIJLi0EEEENSI_IJLi2EEEENSI_IJLi1EEEEEEENS4_IJNSI_IJLi1ELi2EEEENSI_IJLi3ELi4EEEENSI_IJLi5EEEEEEENSI_IJLi3ELi5ELi4EEEElEENS3_INS4_IJNS5_IS6_NS4_IJiS8_EEELb0EEESE_SG_EEENS4_IJSJ_SL_SK_EEESQ_SR_lEENS3_INS4_IJSU_SG_SG_EEESW_NS4_IJSN_NSI_IJLi3EEEENSI_IJLi4EEEEEEESO_lEELi128ELi128ELi16ELi4ELi4ELi4ELi1ENSI_IJLi8ELi2EEEES13_NSI_IJLi2ELi1ELi4ELi4EEEENSI_IJLi8ELi1ELi32ELi1EEEENSI_IJLi0ELi3ELi1ELi2EEEES16_NSI_IJLi1ELi1ELi4ELi1EEEES16_NSI_IJLi1ELi1ELi4ELi4EEEES14_S15_S16_S16_S17_S16_S18_NSI_IJLi0ELi1ELi2ELi3ELi4ELi5EEEELi5ELi4EEEaaNS3_INS4_IJSA_SE_SG_SG_NSB_INS4_IJiNS7_IiLi128EEEEEELb0EEENSF_ISC_EEEEENS4_IJSJ_SK_SL_SZ_SP_S10_EEENS4_IJSN_SO_SP_NSI_IJLi6EEEENSI_IJLi7ELi8EEEENSI_IJLi9EEEEEEENSI_IJLi6ELi7ELi8ELi9EEEElEENS3_INS4_IJSU_SE_SG_SG_S1D_S1E_EEENS4_IJSJ_SL_SK_SZ_SP_S10_EEES1K_S1L_lEENS3_INS4_IJSU_SG_SG_NSB_INS4_IJiNS7_IiLi2EEENS7_IiLi64EEEEEELb0EEES1T_EEENS4_IJSJ_SL_SK_SZ_S10_EEENS4_IJSN_SZ_S10_NSI_IJLi5ELi6ELi7EEEENSI_IJLi8ELi9ELi10EEEEEEENSI_IJLi5ELi6ELi7ELi8ELi9ELi10EEEElEENS_31BlockToCTileMap_M00_N00_M01_N01ILi128ELi128ES12_Lb0EEELb0ELb0EEEvPKT0_S25_PT1_T2_T3_T4_T5_
; %bb.0:
	s_load_dwordx4 s[16:19], s[0:1], 0x0
	s_load_dwordx2 s[4:5], s[0:1], 0x10
	s_load_dwordx4 s[20:23], s[0:1], 0x108
	s_load_dwordx4 s[24:27], s[0:1], 0x11c
	;; [unrolled: 1-line block ×3, first 2 shown]
	s_load_dword s12, s[0:1], 0x24
	s_load_dword s10, s[0:1], 0x50
	;; [unrolled: 1-line block ×8, first 2 shown]
	s_waitcnt lgkmcnt(0)
	s_mul_hi_u32 s0, s27, s2
	s_add_i32 s0, s2, s0
	s_lshr_b32 s0, s0, s31
	s_mul_hi_u32 s1, s0, s26
	s_add_i32 s1, s0, s1
	s_lshr_b32 s15, s1, s30
	s_mul_hi_u32 s9, s15, s25
	s_add_i32 s9, s15, s9
	s_mul_i32 s1, s15, s22
	s_lshr_b32 s22, s9, s29
	s_mul_hi_u32 s9, s22, s24
	s_add_i32 s9, s22, s9
	s_lshr_b32 s9, s9, s28
	s_mul_i32 s9, s9, s20
	s_sub_i32 s9, s22, s9
	v_lshrrev_b32_e32 v1, 4, v0
	s_sub_i32 s1, s0, s1
	s_mul_i32 s9, s9, s8
	v_and_b32_e32 v6, 14, v1
	s_add_i32 s1, s1, s9
	v_lshlrev_b32_e32 v1, 2, v0
	v_lshlrev_b32_e32 v8, 2, v6
	v_and_b32_e32 v7, 0x7c, v1
	s_lshl_b32 s1, s1, 7
	v_mul_lo_u32 v2, s12, v8
	v_add3_u32 v9, v2, v7, s1
	v_lshrrev_b32_e32 v2, 5, v0
	v_lshlrev_b32_e32 v0, 1, v0
	v_and_b32_e32 v4, 0x1f8, v0
	v_and_b32_e32 v0, 0x1fc, v0
	v_lshlrev_b32_e32 v3, 6, v2
	v_sub_u32_e32 v0, v0, v4
	v_sub_u32_e32 v3, v4, v3
	v_lshl_add_u32 v35, v2, 3, v0
	v_mov_b32_e32 v34, 0
	v_and_or_b32 v37, v1, 4, v3
	v_lshlrev_b32_e32 v0, 2, v35
	v_mov_b32_e32 v1, v34
	v_mov_b32_e32 v2, v35
	scratch_store_dwordx3 off, v[0:2], off offset:80
	v_mov_b32_e32 v3, v35
	s_mov_b32 s24, 0
	v_mov_b32_e32 v0, v34
	v_mov_b32_e32 v2, v34
	scratch_store_dwordx4 off, v[0:3], off offset:92
	v_mov_b32_e32 v36, v34
	s_mov_b32 s25, s24
	v_lshlrev_b32_e32 v1, 2, v37
	v_mov_b32_e32 v3, v37
	scratch_store_dwordx4 off, v[0:3], off offset:108
	scratch_store_dwordx4 off, v[34:37], off offset:64
	s_mov_b32 s26, s24
	v_mov_b32_e32 v1, v34
	scratch_store_dwordx4 off, v[0:3], off offset:124
	scratch_store_dword off, v34, off offset:140
	s_mov_b32 s27, s24
	v_mov_b64_e32 v[0:1], s[24:25]
	s_mov_b64 s[8:9], src_shared_base
	v_mov_b64_e32 v[2:3], s[26:27]
	v_mov_b32_e32 v5, s9
	v_mov_b32_e32 v4, v34
	scratch_store_dwordx4 off, v[0:3], off offset:144
	scratch_store_dwordx4 off, v[0:3], off offset:160
	;; [unrolled: 1-line block ×16, first 2 shown]
	scratch_store_dwordx2 off, v[4:5], off offset:400
	scratch_store_byte off, v34, off offset:409
	v_mov_b32_e32 v4, 0x4000
	s_mul_i32 s0, s0, s23
	s_mul_i32 s22, s22, s21
	scratch_store_dwordx2 off, v[4:5], off offset:416
	scratch_store_byte off, v34, off offset:425
	v_add_u32_e32 v5, s12, v9
	s_sub_i32 s0, s2, s0
	s_sub_i32 s2, s15, s22
	v_add_u32_e32 v11, s12, v5
	s_mul_i32 s2, s2, s13
	s_mov_b32 s11, 0x20000
	s_mov_b32 s8, s16
	;; [unrolled: 1-line block ×3, first 2 shown]
	v_add_u32_e32 v12, s12, v11
	s_lshl_b32 s12, s12, 2
	s_add_i32 s0, s0, s2
	buffer_load_dword v4, v9, s[8:11], 0 offen
	buffer_load_dword v10, v5, s[8:11], 0 offen
	;; [unrolled: 1-line block ×4, first 2 shown]
	v_add_u32_e32 v12, s12, v12
	v_add_u32_e32 v11, s12, v11
	s_lshl_b32 s2, s0, 7
	v_mul_lo_u32 v8, s7, v8
	v_add_u32_e32 v5, s12, v5
	buffer_load_dword v15, v12, s[8:11], 0 offen
	buffer_load_dword v16, v11, s[8:11], 0 offen
	v_add_u32_e32 v9, s12, v9
	buffer_load_dword v11, v5, s[8:11], 0 offen
	buffer_load_dword v12, v9, s[8:11], 0 offen
	v_add3_u32 v5, v8, v7, s2
	v_add_u32_e32 v8, s7, v5
	v_add_u32_e32 v18, s7, v8
	s_mov_b32 s12, s18
	s_mov_b32 s13, s19
	;; [unrolled: 1-line block ×3, first 2 shown]
	v_add_u32_e32 v19, s7, v18
	s_lshl_b32 s0, s7, 2
	buffer_load_dword v9, v5, s[12:15], 0 offen
	buffer_load_dword v17, v8, s[12:15], 0 offen
	;; [unrolled: 1-line block ×4, first 2 shown]
	v_add_u32_e32 v19, s0, v19
	v_add_u32_e32 v18, s0, v18
	;; [unrolled: 1-line block ×3, first 2 shown]
	buffer_load_dword v22, v19, s[12:15], 0 offen
	buffer_load_dword v23, v18, s[12:15], 0 offen
	v_add_u32_e32 v5, s0, v5
	buffer_load_dword v18, v8, s[12:15], 0 offen
	buffer_load_dword v19, v5, s[12:15], 0 offen
	v_lshlrev_b32_e32 v5, 2, v7
	s_movk_i32 s7, 0xff00
	v_lshl_or_b32 v8, v6, 9, v5
	s_movk_i32 s0, 0xff
	s_mov_b64 s[8:9], src_private_base
	s_movk_i32 s32, 0x1c0
	s_getpc_b64 s[12:13]
	s_add_u32 s12, s12, _ZNK2ck6detail15static_for_implINS_8SequenceIJLi1ELi2ELi3ELi4ELi5ELi6ELi7ELi8ELi9ELi10ELi11ELi12ELi13ELi14ELi15EEEEEclIZNKS_80BlockwiseGemmDl_A_BK0_BM_BK1_B_BK0_BN_BK1_C_BM0_BM1_BN0_BN1_pipeline_BM0_2_BN0_2ILi256EaaiKNS_16TensorDescriptorINS_5TupleIJNS_5EmbedINS8_IJNS_17integral_constantIiLi16EEENSA_IiLi128EEENSA_IiLi4EEEEEENS8_IJNSA_IiLi512EEESD_NSA_IiLi1EEEEEELb0EEEEEENS8_IJNS2_IJLi0EEEEEEENS8_IJNS2_IJLi1ELi2ELi3EEEEEEESM_NSA_IlLl8192EEEEESQ_Li4ELi4ELi1ENS2_IJLi8ELi2EEEESR_Li4ELi4ELb0EE3RunINS7_INS8_IJNS_7UnMergeINS8_IJNSA_IiLi2EEESD_SV_SD_EEELb0EEEEEESL_NS8_IJNS2_IJLi1ELi2ELi3ELi4EEEEEEESZ_NSA_IlLl64EEEEENS_13DynamicBufferILNS_16AddressSpaceEnumE2EaSO_Lb1ELNS_22AmdBufferCoherenceEnumE0EiEES16_NS_12StaticBufferILS14_4EiLi64ELb1EEEEEvRKT_RKT0_RKT1_RT2_EUlS19_E_EEvS19_@rel32@lo+4
	s_addc_u32 s13, s13, _ZNK2ck6detail15static_for_implINS_8SequenceIJLi1ELi2ELi3ELi4ELi5ELi6ELi7ELi8ELi9ELi10ELi11ELi12ELi13ELi14ELi15EEEEEclIZNKS_80BlockwiseGemmDl_A_BK0_BM_BK1_B_BK0_BN_BK1_C_BM0_BM1_BN0_BN1_pipeline_BM0_2_BN0_2ILi256EaaiKNS_16TensorDescriptorINS_5TupleIJNS_5EmbedINS8_IJNS_17integral_constantIiLi16EEENSA_IiLi128EEENSA_IiLi4EEEEEENS8_IJNSA_IiLi512EEESD_NSA_IiLi1EEEEEELb0EEEEEENS8_IJNS2_IJLi0EEEEEEENS8_IJNS2_IJLi1ELi2ELi3EEEEEEESM_NSA_IlLl8192EEEEESQ_Li4ELi4ELi1ENS2_IJLi8ELi2EEEESR_Li4ELi4ELb0EE3RunINS7_INS8_IJNS_7UnMergeINS8_IJNSA_IiLi2EEESD_SV_SD_EEELb0EEEEEESL_NS8_IJNS2_IJLi1ELi2ELi3ELi4EEEEEEESZ_NSA_IlLl64EEEEENS_13DynamicBufferILNS_16AddressSpaceEnumE2EaSO_Lb1ELNS_22AmdBufferCoherenceEnumE0EiEES16_NS_12StaticBufferILS14_4EiLi64ELb1EEEEEvRKT_RKT0_RKT1_RT2_EUlS19_E_EEvS19_@rel32@hi+12
	s_waitcnt vmcnt(15)
	v_and_b32_sdwa v5, v4, s0 dst_sel:DWORD dst_unused:UNUSED_PAD src0_sel:WORD_1 src1_sel:DWORD
	s_waitcnt vmcnt(14)
	v_and_b32_sdwa v6, v10, s7 dst_sel:DWORD dst_unused:UNUSED_PAD src0_sel:WORD_1 src1_sel:DWORD
	v_or_b32_sdwa v7, v4, v6 dst_sel:DWORD dst_unused:UNUSED_PAD src0_sel:BYTE_3 src1_sel:DWORD
	v_mov_b32_e32 v6, 8
	v_lshlrev_b16_sdwa v24, v6, v10 dst_sel:DWORD dst_unused:UNUSED_PAD src0_sel:DWORD src1_sel:WORD_1
	s_waitcnt vmcnt(12)
	v_lshlrev_b16_sdwa v27, v6, v14 dst_sel:DWORD dst_unused:UNUSED_PAD src0_sel:DWORD src1_sel:WORD_1
	v_or_b32_e32 v24, v5, v24
	s_waitcnt vmcnt(11)
	v_lshlrev_b16_sdwa v29, v6, v15 dst_sel:DWORD dst_unused:UNUSED_PAD src0_sel:DWORD src1_sel:WORD_1
	v_and_b32_e32 v5, 0xffffff00, v10
	s_waitcnt vmcnt(9)
	v_lshlrev_b16_sdwa v32, v6, v11 dst_sel:DWORD dst_unused:UNUSED_PAD src0_sel:DWORD src1_sel:WORD_1
	v_and_b32_sdwa v25, v13, s0 dst_sel:DWORD dst_unused:UNUSED_PAD src0_sel:WORD_1 src1_sel:DWORD
	v_or_b32_sdwa v5, v4, v5 dst_sel:DWORD dst_unused:UNUSED_PAD src0_sel:BYTE_1 src1_sel:DWORD
	v_and_b32_sdwa v26, v14, s7 dst_sel:DWORD dst_unused:UNUSED_PAD src0_sel:WORD_1 src1_sel:DWORD
	v_or_b32_sdwa v25, v25, v27 dst_sel:WORD_1 dst_unused:UNUSED_PAD src0_sel:DWORD src1_sel:DWORD
	v_and_b32_e32 v27, 0xffffff00, v14
	v_or_b32_sdwa v26, v13, v26 dst_sel:WORD_1 dst_unused:UNUSED_PAD src0_sel:BYTE_3 src1_sel:DWORD
	v_or_b32_sdwa v27, v13, v27 dst_sel:WORD_1 dst_unused:UNUSED_PAD src0_sel:BYTE_1 src1_sel:DWORD
	v_and_b32_sdwa v30, v16, s0 dst_sel:DWORD dst_unused:UNUSED_PAD src0_sel:WORD_1 src1_sel:DWORD
	s_waitcnt vmcnt(8)
	v_and_b32_sdwa v33, v12, s0 dst_sel:DWORD dst_unused:UNUSED_PAD src0_sel:WORD_1 src1_sel:DWORD
	s_waitcnt vmcnt(6)
	v_lshlrev_b16_sdwa v38, v6, v17 dst_sel:DWORD dst_unused:UNUSED_PAD src0_sel:DWORD src1_sel:WORD_1
	s_waitcnt vmcnt(4)
	v_lshlrev_b16_sdwa v41, v6, v21 dst_sel:DWORD dst_unused:UNUSED_PAD src0_sel:DWORD src1_sel:WORD_1
	v_or_b32_sdwa v5, v5, v27 dst_sel:DWORD dst_unused:UNUSED_PAD src0_sel:WORD_0 src1_sel:DWORD
	v_or_b32_sdwa v7, v7, v26 dst_sel:DWORD dst_unused:UNUSED_PAD src0_sel:WORD_0 src1_sel:DWORD
	s_waitcnt vmcnt(3)
	v_lshlrev_b16_sdwa v43, v6, v22 dst_sel:DWORD dst_unused:UNUSED_PAD src0_sel:DWORD src1_sel:WORD_1
	v_and_b32_sdwa v28, v15, s7 dst_sel:DWORD dst_unused:UNUSED_PAD src0_sel:WORD_1 src1_sel:DWORD
	s_waitcnt vmcnt(1)
	v_lshlrev_b16_sdwa v6, v6, v18 dst_sel:DWORD dst_unused:UNUSED_PAD src0_sel:DWORD src1_sel:WORD_1
	s_waitcnt vmcnt(0)
	v_and_b32_sdwa v46, v19, s0 dst_sel:DWORD dst_unused:UNUSED_PAD src0_sel:WORD_1 src1_sel:DWORD
	v_or_b32_e32 v46, v46, v6
	v_and_b32_e32 v6, 0xffffff00, v18
	v_or_b32_sdwa v47, v19, v6 dst_sel:DWORD dst_unused:UNUSED_PAD src0_sel:BYTE_1 src1_sel:DWORD
	v_lshlrev_b16_e32 v6, 8, v10
	v_or_b32_sdwa v4, v4, v6 dst_sel:DWORD dst_unused:UNUSED_PAD src0_sel:BYTE_0 src1_sel:DWORD
	v_lshlrev_b16_e32 v6, 8, v14
	v_or_b32_sdwa v6, v13, v6 dst_sel:WORD_1 dst_unused:UNUSED_PAD src0_sel:BYTE_0 src1_sel:DWORD
	v_or_b32_sdwa v29, v30, v29 dst_sel:WORD_1 dst_unused:UNUSED_PAD src0_sel:DWORD src1_sel:DWORD
	v_or_b32_sdwa v4, v4, v6 dst_sel:DWORD dst_unused:UNUSED_PAD src0_sel:WORD_0 src1_sel:DWORD
	v_or_b32_sdwa v6, v24, v25 dst_sel:DWORD dst_unused:UNUSED_PAD src0_sel:WORD_0 src1_sel:DWORD
	v_and_b32_e32 v30, 0xffffff00, v15
	v_and_b32_sdwa v31, v11, s7 dst_sel:DWORD dst_unused:UNUSED_PAD src0_sel:WORD_1 src1_sel:DWORD
	v_or_b32_e32 v32, v33, v32
	v_and_b32_e32 v33, 0xffffff00, v11
	ds_write_b128 v8, v[4:7]
	v_lshlrev_b16_e32 v4, 8, v11
	v_lshlrev_b16_e32 v5, 8, v15
	v_or_b32_sdwa v28, v16, v28 dst_sel:WORD_1 dst_unused:UNUSED_PAD src0_sel:BYTE_3 src1_sel:DWORD
	v_or_b32_sdwa v30, v16, v30 dst_sel:WORD_1 dst_unused:UNUSED_PAD src0_sel:BYTE_1 src1_sel:DWORD
	v_or_b32_sdwa v31, v12, v31 dst_sel:DWORD dst_unused:UNUSED_PAD src0_sel:BYTE_3 src1_sel:DWORD
	v_or_b32_sdwa v33, v12, v33 dst_sel:DWORD dst_unused:UNUSED_PAD src0_sel:BYTE_1 src1_sel:DWORD
	v_or_b32_sdwa v4, v12, v4 dst_sel:DWORD dst_unused:UNUSED_PAD src0_sel:BYTE_0 src1_sel:DWORD
	v_or_b32_sdwa v5, v16, v5 dst_sel:WORD_1 dst_unused:UNUSED_PAD src0_sel:BYTE_0 src1_sel:DWORD
	v_and_b32_sdwa v34, v9, s0 dst_sel:DWORD dst_unused:UNUSED_PAD src0_sel:WORD_1 src1_sel:DWORD
	v_and_b32_sdwa v39, v20, s0 dst_sel:DWORD dst_unused:UNUSED_PAD src0_sel:WORD_1 src1_sel:DWORD
	v_or_b32_sdwa v4, v4, v5 dst_sel:DWORD dst_unused:UNUSED_PAD src0_sel:WORD_0 src1_sel:DWORD
	v_or_b32_sdwa v5, v33, v30 dst_sel:DWORD dst_unused:UNUSED_PAD src0_sel:WORD_0 src1_sel:DWORD
	;; [unrolled: 1-line block ×4, first 2 shown]
	v_and_b32_sdwa v36, v17, s7 dst_sel:DWORD dst_unused:UNUSED_PAD src0_sel:WORD_1 src1_sel:DWORD
	v_or_b32_e32 v34, v34, v38
	v_and_b32_e32 v38, 0xffffff00, v17
	v_and_b32_sdwa v40, v21, s7 dst_sel:DWORD dst_unused:UNUSED_PAD src0_sel:WORD_1 src1_sel:DWORD
	v_or_b32_sdwa v39, v39, v41 dst_sel:WORD_1 dst_unused:UNUSED_PAD src0_sel:DWORD src1_sel:DWORD
	v_and_b32_e32 v41, 0xffffff00, v21
	ds_write_b128 v8, v[4:7] offset:512
	v_lshlrev_b16_e32 v4, 8, v17
	v_lshlrev_b16_e32 v5, 8, v21
	v_or_b32_sdwa v36, v9, v36 dst_sel:DWORD dst_unused:UNUSED_PAD src0_sel:BYTE_3 src1_sel:DWORD
	v_or_b32_sdwa v38, v9, v38 dst_sel:DWORD dst_unused:UNUSED_PAD src0_sel:BYTE_1 src1_sel:DWORD
	v_or_b32_sdwa v40, v20, v40 dst_sel:WORD_1 dst_unused:UNUSED_PAD src0_sel:BYTE_3 src1_sel:DWORD
	v_or_b32_sdwa v41, v20, v41 dst_sel:WORD_1 dst_unused:UNUSED_PAD src0_sel:BYTE_1 src1_sel:DWORD
	v_or_b32_sdwa v4, v9, v4 dst_sel:DWORD dst_unused:UNUSED_PAD src0_sel:BYTE_0 src1_sel:DWORD
	v_or_b32_sdwa v5, v20, v5 dst_sel:WORD_1 dst_unused:UNUSED_PAD src0_sel:BYTE_0 src1_sel:DWORD
	v_and_b32_sdwa v44, v23, s0 dst_sel:DWORD dst_unused:UNUSED_PAD src0_sel:WORD_1 src1_sel:DWORD
	v_or_b32_sdwa v4, v4, v5 dst_sel:DWORD dst_unused:UNUSED_PAD src0_sel:WORD_0 src1_sel:DWORD
	v_or_b32_sdwa v5, v38, v41 dst_sel:DWORD dst_unused:UNUSED_PAD src0_sel:WORD_0 src1_sel:DWORD
	;; [unrolled: 1-line block ×4, first 2 shown]
	v_and_b32_sdwa v42, v22, s7 dst_sel:DWORD dst_unused:UNUSED_PAD src0_sel:WORD_1 src1_sel:DWORD
	v_or_b32_sdwa v43, v44, v43 dst_sel:WORD_1 dst_unused:UNUSED_PAD src0_sel:DWORD src1_sel:DWORD
	v_and_b32_e32 v44, 0xffffff00, v22
	v_and_b32_sdwa v45, v18, s7 dst_sel:DWORD dst_unused:UNUSED_PAD src0_sel:WORD_1 src1_sel:DWORD
	ds_write_b128 v8, v[4:7] offset:16384
	v_lshlrev_b16_e32 v4, 8, v18
	v_lshlrev_b16_e32 v5, 8, v22
	v_or_b32_sdwa v42, v23, v42 dst_sel:WORD_1 dst_unused:UNUSED_PAD src0_sel:BYTE_3 src1_sel:DWORD
	v_or_b32_sdwa v44, v23, v44 dst_sel:WORD_1 dst_unused:UNUSED_PAD src0_sel:BYTE_1 src1_sel:DWORD
	v_or_b32_sdwa v45, v19, v45 dst_sel:DWORD dst_unused:UNUSED_PAD src0_sel:BYTE_3 src1_sel:DWORD
	v_or_b32_sdwa v4, v19, v4 dst_sel:DWORD dst_unused:UNUSED_PAD src0_sel:BYTE_0 src1_sel:DWORD
	v_or_b32_sdwa v5, v23, v5 dst_sel:WORD_1 dst_unused:UNUSED_PAD src0_sel:BYTE_0 src1_sel:DWORD
	v_or_b32_sdwa v6, v46, v43 dst_sel:DWORD dst_unused:UNUSED_PAD src0_sel:WORD_0 src1_sel:DWORD
	v_or_b32_sdwa v4, v4, v5 dst_sel:DWORD dst_unused:UNUSED_PAD src0_sel:WORD_0 src1_sel:DWORD
	;; [unrolled: 1-line block ×4, first 2 shown]
	ds_write_b128 v8, v[4:7] offset:16896
	s_waitcnt lgkmcnt(0)
	s_barrier
	scratch_load_dword v4, off, off offset:80
	scratch_load_dwordx2 v[6:7], off, off offset:400
	s_nop 0
	scratch_store_dwordx4 off, v[0:3], off
	scratch_store_dwordx4 off, v[0:3], off offset:16
	scratch_store_dwordx4 off, v[0:3], off offset:32
	;; [unrolled: 1-line block ×3, first 2 shown]
	scratch_load_dword v8, off, off offset:112
	s_waitcnt vmcnt(6)
	v_ashrrev_i32_e32 v5, 31, v4
	s_waitcnt vmcnt(5)
	v_lshl_add_u64 v[32:33], v[6:7], 0, v[4:5]
	scratch_load_dwordx2 v[4:5], off, off offset:416
	flat_load_dwordx4 v[0:3], v[32:33]
	s_waitcnt vmcnt(0)
	v_ashrrev_i32_e32 v9, 31, v8
	v_lshl_add_u64 v[8:9], v[4:5], 0, v[8:9]
	s_waitcnt lgkmcnt(0)
	scratch_store_dwordx4 off, v[0:3], off
	flat_load_dwordx4 v[4:7], v[8:9]
	s_waitcnt vmcnt(0) lgkmcnt(0)
	scratch_store_dwordx4 off, v[4:7], off offset:32
	flat_load_dwordx4 v[8:11], v[8:9] offset:256
	s_nop 0
	scratch_load_dwordx4 v[12:15], off, off offset:144
	scratch_load_dwordx4 v[16:19], off, off offset:176
	;; [unrolled: 1-line block ×8, first 2 shown]
	s_waitcnt vmcnt(0)
	v_dot4c_i32_i8_e32 v12, v0, v4
	s_waitcnt lgkmcnt(0)
	scratch_store_dwordx4 off, v[8:11], off offset:48
	flat_load_dwordx4 v[50:53], v[32:33] offset:256
	v_dot4c_i32_i8_e32 v13, v0, v5
	v_dot4c_i32_i8_e32 v14, v0, v6
	;; [unrolled: 1-line block ×31, first 2 shown]
	v_mov_b32_e32 v0, 64
	v_mov_b32_e32 v2, 0x190
	;; [unrolled: 1-line block ×12, first 2 shown]
	scratch_store_dwordx4 off, v[12:15], off offset:144
	scratch_store_dwordx4 off, v[16:19], off offset:176
	;; [unrolled: 1-line block ×8, first 2 shown]
	s_waitcnt vmcnt(0) lgkmcnt(0)
	scratch_store_dwordx4 off, v[50:53], off offset:16
	s_swappc_b64 s[30:31], s[12:13]
	scratch_load_dword v36, off, off offset:16
	scratch_load_dword v78, off, off offset:32
	scratch_load_dwordx4 v[0:3], off, off offset:272
	scratch_load_dwordx4 v[16:19], off, off offset:32
	;; [unrolled: 1-line block ×6, first 2 shown]
	scratch_load_dword v4, off, off offset:48
	scratch_load_dwordx4 v[12:15], off, off offset:288
	scratch_load_dwordx4 v[28:31], off, off offset:352
	;; [unrolled: 1-line block ×12, first 2 shown]
	s_waitcnt vmcnt(17)
	v_add_u32_e32 v16, s1, v35
	v_mul_lo_u32 v16, v16, s3
	v_add3_u32 v37, s2, v37, v16
	s_waitcnt vmcnt(9)
	v_add_u32_e32 v38, s3, v37
	v_add_u32_e32 v80, s3, v38
	s_lshl_b32 s1, s3, 6
	v_add_u32_e32 v16, 64, v80
	v_add_u32_e32 v82, s3, v16
	;; [unrolled: 1-line block ×3, first 2 shown]
	scratch_load_dwordx4 v[32:35], off, off offset:240
	s_mov_b32 s0, 0xc0c0500
	v_add_u32_e32 v81, s3, v80
	s_mov_b32 s7, s11
	v_add_u32_e32 v83, s1, v81
	v_add_u32_e32 v79, 64, v38
	v_subrev_u32_e32 v85, 64, v84
	v_dot4c_i32_i8_e32 v12, v36, v4
	v_dot4c_i32_i8_e32 v13, v36, v39
	;; [unrolled: 1-line block ×4, first 2 shown]
	s_waitcnt vmcnt(9)
	v_dot4c_i32_i8_e32 v42, v7, v4
	v_dot4c_i32_i8_e32 v43, v7, v39
	;; [unrolled: 1-line block ×11, first 2 shown]
	scratch_store_dwordx4 off, v[24:27], off offset:368
	scratch_store_dwordx4 off, v[42:45], off offset:384
	v_dot4c_i32_i8_e32 v31, v6, v41
	v_dot4c_i32_i8_e32 v2, v36, v18
	;; [unrolled: 1-line block ×10, first 2 shown]
	scratch_load_dwordx4 v[16:19], off, off offset:368
	scratch_load_dwordx4 v[24:27], off, off offset:384
	v_dot4c_i32_i8_e32 v8, v5, v78
	scratch_store_dwordx4 off, v[28:31], off offset:352
	scratch_load_dwordx4 v[28:31], off, off offset:352
	s_waitcnt vmcnt(14)
	v_dot4c_i32_i8_e32 v46, v5, v4
	scratch_store_dwordx4 off, v[20:23], off offset:336
	scratch_load_dwordx4 v[20:23], off, off offset:336
	v_dot4c_i32_i8_e32 v47, v5, v39
	scratch_store_dwordx4 off, v[8:11], off offset:304
	v_dot4c_i32_i8_e32 v48, v5, v40
	v_dot4c_i32_i8_e32 v49, v5, v41
	scratch_load_dwordx4 v[4:7], off, off offset:304
	v_dot4c_i32_i8_e32 v14, v36, v40
	v_dot4c_i32_i8_e32 v15, v36, v41
	scratch_store_dwordx4 off, v[46:49], off offset:320
	scratch_load_dwordx4 v[8:11], off, off offset:320
	s_waitcnt vmcnt(19)
	v_lshlrev_b32_e32 v36, 8, v51
	scratch_store_dwordx4 off, v[12:15], off offset:288
	scratch_load_dwordx4 v[12:15], off, off offset:288
	v_lshlrev_b32_e32 v39, 16, v52
	scratch_store_dwordx4 off, v[0:3], off offset:272
	scratch_load_dwordx4 v[0:3], off, off offset:272
	v_lshlrev_b32_e32 v40, 24, v53
	s_waitcnt vmcnt(22)
	v_lshlrev_b32_e32 v41, 8, v55
	v_lshlrev_b32_e32 v42, 16, v56
	v_lshlrev_b32_e32 v43, 24, v57
	s_waitcnt vmcnt(21)
	v_lshlrev_b32_e32 v44, 8, v59
	v_lshlrev_b32_e32 v45, 16, v60
	;; [unrolled: 4-line block ×3, first 2 shown]
	s_waitcnt vmcnt(19)
	v_lshlrev_b32_e32 v56, 8, v67
	v_lshlrev_b32_e32 v57, 16, v68
	s_waitcnt vmcnt(18)
	v_lshlrev_b32_e32 v60, 8, v71
	v_lshlrev_b32_e32 v61, 16, v72
	;; [unrolled: 3-line block ×4, first 2 shown]
	v_and_b32_e32 v39, 0xff0000, v39
	v_perm_b32 v36, v36, v50, s0
	v_lshlrev_b32_e32 v55, 24, v65
	v_lshlrev_b32_e32 v59, 24, v69
	;; [unrolled: 1-line block ×5, first 2 shown]
	v_and_b32_e32 v42, 0xff0000, v42
	v_perm_b32 v41, v41, v54, s0
	v_and_b32_e32 v45, 0xff0000, v45
	v_perm_b32 v44, v44, v58, s0
	v_and_b32_e32 v50, 0xff0000, v53
	v_perm_b32 v52, v52, v62, s0
	v_and_b32_e32 v53, 0xff0000, v57
	v_perm_b32 v54, v56, v66, s0
	v_and_b32_e32 v56, 0xff0000, v61
	v_perm_b32 v57, v60, v70, s0
	v_and_b32_e32 v48, 0xff0000, v48
	v_perm_b32 v47, v47, v74, s0
	v_and_b32_e32 v34, 0xff0000, v34
	v_perm_b32 v32, v33, v32, s0
	v_or3_b32 v33, v36, v39, v40
	v_or3_b32 v36, v41, v42, v43
	;; [unrolled: 1-line block ×8, first 2 shown]
	buffer_store_dword v33, v37, s[4:7], 0 offen
	buffer_store_dword v36, v37, s[4:7], 0 offen offset:64
	buffer_store_dword v39, v79, s[4:7], 0 offen
	buffer_store_dword v40, v38, s[4:7], 0 offen
	buffer_store_dword v41, v80, s[4:7], 0 offen
	buffer_store_dword v42, v80, s[4:7], 0 offen offset:64
	buffer_store_dword v43, v82, s[4:7], 0 offen
	buffer_store_dword v32, v81, s[4:7], 0 offen
	s_waitcnt vmcnt(21)
	v_lshlrev_b32_e32 v17, 8, v17
	v_lshlrev_b32_e32 v18, 16, v18
	s_waitcnt vmcnt(20)
	v_lshlrev_b32_e32 v25, 8, v25
	v_lshlrev_b32_e32 v26, 16, v26
	;; [unrolled: 1-line block ×4, first 2 shown]
	s_waitcnt vmcnt(18)
	v_lshlrev_b32_e32 v29, 8, v29
	v_lshlrev_b32_e32 v30, 16, v30
	v_and_b32_e32 v18, 0xff0000, v18
	v_perm_b32 v16, v17, v16, s0
	v_and_b32_e32 v17, 0xff0000, v26
	v_perm_b32 v24, v25, v24, s0
	v_lshlrev_b32_e32 v31, 24, v31
	s_waitcnt vmcnt(16)
	v_lshlrev_b32_e32 v21, 8, v21
	v_lshlrev_b32_e32 v22, 16, v22
	v_and_b32_e32 v25, 0xff0000, v30
	v_perm_b32 v26, v29, v28, s0
	v_or3_b32 v16, v16, v18, v19
	v_or3_b32 v17, v24, v17, v27
	v_and_b32_e32 v22, 0xff0000, v22
	v_or3_b32 v18, v26, v25, v31
	buffer_store_dword v16, v83, s[4:7], 0 offen
	buffer_store_dword v17, v83, s[4:7], 0 offen offset:64
	buffer_store_dword v18, v84, s[4:7], 0 offen
	v_perm_b32 v16, v21, v20, s0
	v_lshlrev_b32_e32 v17, 24, v23
	s_waitcnt vmcnt(17)
	v_lshlrev_b32_e32 v5, 8, v5
	v_lshlrev_b32_e32 v6, 16, v6
	v_or3_b32 v16, v16, v22, v17
	v_and_b32_e32 v6, 0xff0000, v6
	v_perm_b32 v4, v5, v4, s0
	v_lshlrev_b32_e32 v5, 24, v7
	buffer_store_dword v16, v85, s[4:7], 0 offen
	v_subrev_u32_e32 v16, s3, v85
	v_or3_b32 v4, v4, v6, v5
	buffer_store_dword v4, v16, s[4:7], 0 offen
	s_waitcnt vmcnt(17)
	v_lshlrev_b32_e32 v4, 8, v9
	v_lshlrev_b32_e32 v5, 16, v10
	v_and_b32_e32 v5, 0xff0000, v5
	v_perm_b32 v4, v4, v8, s0
	v_lshlrev_b32_e32 v6, 24, v11
	v_or3_b32 v4, v4, v5, v6
	s_waitcnt vmcnt(15)
	v_lshlrev_b32_e32 v6, 8, v13
	v_lshlrev_b32_e32 v7, 16, v14
	s_waitcnt vmcnt(13)
	v_lshlrev_b32_e32 v1, 8, v1
	v_lshlrev_b32_e32 v2, 16, v2
	buffer_store_dword v4, v16, s[4:7], 0 offen offset:64
	v_subrev_u32_e32 v4, s3, v16
	v_and_b32_e32 v7, 0xff0000, v7
	v_perm_b32 v6, v6, v12, s0
	v_lshlrev_b32_e32 v8, 24, v15
	v_and_b32_e32 v2, 0xff0000, v2
	v_perm_b32 v0, v1, v0, s0
	v_lshlrev_b32_e32 v1, 24, v3
	v_add_u32_e32 v5, 64, v4
	v_or3_b32 v6, v6, v7, v8
	v_or3_b32 v0, v0, v2, v1
	buffer_store_dword v6, v5, s[4:7], 0 offen
	buffer_store_dword v0, v4, s[4:7], 0 offen
	s_endpgm
	.section	.rodata,"a",@progbits
	.p2align	6, 0x0
	.amdhsa_kernel _ZN2ck19kernel_gemm_dl_v1r3INS_28GridwiseGemmDl_km_kn_mn_v1r3ILi256EaiaLNS_25InMemoryDataOperationEnumE0ENS_16TensorDescriptorINS_5TupleIJNS_5EmbedINS4_IJiiEEENS4_IJNS_17integral_constantIiLi1EEEiEEELb0EEENS_7UnMergeINS4_IJiNS7_IiLi4EEEEEELb0EEENS_11PassThroughIiEEEEENS4_IJNS_8SequenceIJLi0EEEENSI_IJLi2EEEENSI_IJLi1EEEEEEENS4_IJNSI_IJLi1ELi2EEEENSI_IJLi3ELi4EEEENSI_IJLi5EEEEEEENSI_IJLi3ELi5ELi4EEEElEENS3_INS4_IJNS5_IS6_NS4_IJiS8_EEELb0EEESE_SG_EEENS4_IJSJ_SL_SK_EEESQ_SR_lEENS3_INS4_IJSU_SG_SG_EEESW_NS4_IJSN_NSI_IJLi3EEEENSI_IJLi4EEEEEEESO_lEELi128ELi128ELi16ELi4ELi4ELi4ELi1ENSI_IJLi8ELi2EEEES13_NSI_IJLi2ELi1ELi4ELi4EEEENSI_IJLi8ELi1ELi32ELi1EEEENSI_IJLi0ELi3ELi1ELi2EEEES16_NSI_IJLi1ELi1ELi4ELi1EEEES16_NSI_IJLi1ELi1ELi4ELi4EEEES14_S15_S16_S16_S17_S16_S18_NSI_IJLi0ELi1ELi2ELi3ELi4ELi5EEEELi5ELi4EEEaaNS3_INS4_IJSA_SE_SG_SG_NSB_INS4_IJiNS7_IiLi128EEEEEELb0EEENSF_ISC_EEEEENS4_IJSJ_SK_SL_SZ_SP_S10_EEENS4_IJSN_SO_SP_NSI_IJLi6EEEENSI_IJLi7ELi8EEEENSI_IJLi9EEEEEEENSI_IJLi6ELi7ELi8ELi9EEEElEENS3_INS4_IJSU_SE_SG_SG_S1D_S1E_EEENS4_IJSJ_SL_SK_SZ_SP_S10_EEES1K_S1L_lEENS3_INS4_IJSU_SG_SG_NSB_INS4_IJiNS7_IiLi2EEENS7_IiLi64EEEEEELb0EEES1T_EEENS4_IJSJ_SL_SK_SZ_S10_EEENS4_IJSN_SZ_S10_NSI_IJLi5ELi6ELi7EEEENSI_IJLi8ELi9ELi10EEEEEEENSI_IJLi5ELi6ELi7ELi8ELi9ELi10EEEElEENS_31BlockToCTileMap_M00_N00_M01_N01ILi128ELi128ES12_Lb0EEELb0ELb0EEEvPKT0_S25_PT1_T2_T3_T4_T5_
		.amdhsa_group_segment_fixed_size 32768
		.amdhsa_private_segment_fixed_size 448
		.amdhsa_kernarg_size 328
		.amdhsa_user_sgpr_count 2
		.amdhsa_user_sgpr_dispatch_ptr 0
		.amdhsa_user_sgpr_queue_ptr 0
		.amdhsa_user_sgpr_kernarg_segment_ptr 1
		.amdhsa_user_sgpr_dispatch_id 0
		.amdhsa_user_sgpr_kernarg_preload_length 0
		.amdhsa_user_sgpr_kernarg_preload_offset 0
		.amdhsa_user_sgpr_private_segment_size 0
		.amdhsa_uses_dynamic_stack 0
		.amdhsa_enable_private_segment 1
		.amdhsa_system_sgpr_workgroup_id_x 1
		.amdhsa_system_sgpr_workgroup_id_y 0
		.amdhsa_system_sgpr_workgroup_id_z 0
		.amdhsa_system_sgpr_workgroup_info 0
		.amdhsa_system_vgpr_workitem_id 0
		.amdhsa_next_free_vgpr 86
		.amdhsa_next_free_sgpr 33
		.amdhsa_accum_offset 88
		.amdhsa_reserve_vcc 1
		.amdhsa_float_round_mode_32 0
		.amdhsa_float_round_mode_16_64 0
		.amdhsa_float_denorm_mode_32 3
		.amdhsa_float_denorm_mode_16_64 3
		.amdhsa_dx10_clamp 1
		.amdhsa_ieee_mode 1
		.amdhsa_fp16_overflow 0
		.amdhsa_tg_split 0
		.amdhsa_exception_fp_ieee_invalid_op 0
		.amdhsa_exception_fp_denorm_src 0
		.amdhsa_exception_fp_ieee_div_zero 0
		.amdhsa_exception_fp_ieee_overflow 0
		.amdhsa_exception_fp_ieee_underflow 0
		.amdhsa_exception_fp_ieee_inexact 0
		.amdhsa_exception_int_div_zero 0
	.end_amdhsa_kernel
	.section	.text._ZN2ck19kernel_gemm_dl_v1r3INS_28GridwiseGemmDl_km_kn_mn_v1r3ILi256EaiaLNS_25InMemoryDataOperationEnumE0ENS_16TensorDescriptorINS_5TupleIJNS_5EmbedINS4_IJiiEEENS4_IJNS_17integral_constantIiLi1EEEiEEELb0EEENS_7UnMergeINS4_IJiNS7_IiLi4EEEEEELb0EEENS_11PassThroughIiEEEEENS4_IJNS_8SequenceIJLi0EEEENSI_IJLi2EEEENSI_IJLi1EEEEEEENS4_IJNSI_IJLi1ELi2EEEENSI_IJLi3ELi4EEEENSI_IJLi5EEEEEEENSI_IJLi3ELi5ELi4EEEElEENS3_INS4_IJNS5_IS6_NS4_IJiS8_EEELb0EEESE_SG_EEENS4_IJSJ_SL_SK_EEESQ_SR_lEENS3_INS4_IJSU_SG_SG_EEESW_NS4_IJSN_NSI_IJLi3EEEENSI_IJLi4EEEEEEESO_lEELi128ELi128ELi16ELi4ELi4ELi4ELi1ENSI_IJLi8ELi2EEEES13_NSI_IJLi2ELi1ELi4ELi4EEEENSI_IJLi8ELi1ELi32ELi1EEEENSI_IJLi0ELi3ELi1ELi2EEEES16_NSI_IJLi1ELi1ELi4ELi1EEEES16_NSI_IJLi1ELi1ELi4ELi4EEEES14_S15_S16_S16_S17_S16_S18_NSI_IJLi0ELi1ELi2ELi3ELi4ELi5EEEELi5ELi4EEEaaNS3_INS4_IJSA_SE_SG_SG_NSB_INS4_IJiNS7_IiLi128EEEEEELb0EEENSF_ISC_EEEEENS4_IJSJ_SK_SL_SZ_SP_S10_EEENS4_IJSN_SO_SP_NSI_IJLi6EEEENSI_IJLi7ELi8EEEENSI_IJLi9EEEEEEENSI_IJLi6ELi7ELi8ELi9EEEElEENS3_INS4_IJSU_SE_SG_SG_S1D_S1E_EEENS4_IJSJ_SL_SK_SZ_SP_S10_EEES1K_S1L_lEENS3_INS4_IJSU_SG_SG_NSB_INS4_IJiNS7_IiLi2EEENS7_IiLi64EEEEEELb0EEES1T_EEENS4_IJSJ_SL_SK_SZ_S10_EEENS4_IJSN_SZ_S10_NSI_IJLi5ELi6ELi7EEEENSI_IJLi8ELi9ELi10EEEEEEENSI_IJLi5ELi6ELi7ELi8ELi9ELi10EEEElEENS_31BlockToCTileMap_M00_N00_M01_N01ILi128ELi128ES12_Lb0EEELb0ELb0EEEvPKT0_S25_PT1_T2_T3_T4_T5_,"axG",@progbits,_ZN2ck19kernel_gemm_dl_v1r3INS_28GridwiseGemmDl_km_kn_mn_v1r3ILi256EaiaLNS_25InMemoryDataOperationEnumE0ENS_16TensorDescriptorINS_5TupleIJNS_5EmbedINS4_IJiiEEENS4_IJNS_17integral_constantIiLi1EEEiEEELb0EEENS_7UnMergeINS4_IJiNS7_IiLi4EEEEEELb0EEENS_11PassThroughIiEEEEENS4_IJNS_8SequenceIJLi0EEEENSI_IJLi2EEEENSI_IJLi1EEEEEEENS4_IJNSI_IJLi1ELi2EEEENSI_IJLi3ELi4EEEENSI_IJLi5EEEEEEENSI_IJLi3ELi5ELi4EEEElEENS3_INS4_IJNS5_IS6_NS4_IJiS8_EEELb0EEESE_SG_EEENS4_IJSJ_SL_SK_EEESQ_SR_lEENS3_INS4_IJSU_SG_SG_EEESW_NS4_IJSN_NSI_IJLi3EEEENSI_IJLi4EEEEEEESO_lEELi128ELi128ELi16ELi4ELi4ELi4ELi1ENSI_IJLi8ELi2EEEES13_NSI_IJLi2ELi1ELi4ELi4EEEENSI_IJLi8ELi1ELi32ELi1EEEENSI_IJLi0ELi3ELi1ELi2EEEES16_NSI_IJLi1ELi1ELi4ELi1EEEES16_NSI_IJLi1ELi1ELi4ELi4EEEES14_S15_S16_S16_S17_S16_S18_NSI_IJLi0ELi1ELi2ELi3ELi4ELi5EEEELi5ELi4EEEaaNS3_INS4_IJSA_SE_SG_SG_NSB_INS4_IJiNS7_IiLi128EEEEEELb0EEENSF_ISC_EEEEENS4_IJSJ_SK_SL_SZ_SP_S10_EEENS4_IJSN_SO_SP_NSI_IJLi6EEEENSI_IJLi7ELi8EEEENSI_IJLi9EEEEEEENSI_IJLi6ELi7ELi8ELi9EEEElEENS3_INS4_IJSU_SE_SG_SG_S1D_S1E_EEENS4_IJSJ_SL_SK_SZ_SP_S10_EEES1K_S1L_lEENS3_INS4_IJSU_SG_SG_NSB_INS4_IJiNS7_IiLi2EEENS7_IiLi64EEEEEELb0EEES1T_EEENS4_IJSJ_SL_SK_SZ_S10_EEENS4_IJSN_SZ_S10_NSI_IJLi5ELi6ELi7EEEENSI_IJLi8ELi9ELi10EEEEEEENSI_IJLi5ELi6ELi7ELi8ELi9ELi10EEEElEENS_31BlockToCTileMap_M00_N00_M01_N01ILi128ELi128ES12_Lb0EEELb0ELb0EEEvPKT0_S25_PT1_T2_T3_T4_T5_,comdat
.Lfunc_end5:
	.size	_ZN2ck19kernel_gemm_dl_v1r3INS_28GridwiseGemmDl_km_kn_mn_v1r3ILi256EaiaLNS_25InMemoryDataOperationEnumE0ENS_16TensorDescriptorINS_5TupleIJNS_5EmbedINS4_IJiiEEENS4_IJNS_17integral_constantIiLi1EEEiEEELb0EEENS_7UnMergeINS4_IJiNS7_IiLi4EEEEEELb0EEENS_11PassThroughIiEEEEENS4_IJNS_8SequenceIJLi0EEEENSI_IJLi2EEEENSI_IJLi1EEEEEEENS4_IJNSI_IJLi1ELi2EEEENSI_IJLi3ELi4EEEENSI_IJLi5EEEEEEENSI_IJLi3ELi5ELi4EEEElEENS3_INS4_IJNS5_IS6_NS4_IJiS8_EEELb0EEESE_SG_EEENS4_IJSJ_SL_SK_EEESQ_SR_lEENS3_INS4_IJSU_SG_SG_EEESW_NS4_IJSN_NSI_IJLi3EEEENSI_IJLi4EEEEEEESO_lEELi128ELi128ELi16ELi4ELi4ELi4ELi1ENSI_IJLi8ELi2EEEES13_NSI_IJLi2ELi1ELi4ELi4EEEENSI_IJLi8ELi1ELi32ELi1EEEENSI_IJLi0ELi3ELi1ELi2EEEES16_NSI_IJLi1ELi1ELi4ELi1EEEES16_NSI_IJLi1ELi1ELi4ELi4EEEES14_S15_S16_S16_S17_S16_S18_NSI_IJLi0ELi1ELi2ELi3ELi4ELi5EEEELi5ELi4EEEaaNS3_INS4_IJSA_SE_SG_SG_NSB_INS4_IJiNS7_IiLi128EEEEEELb0EEENSF_ISC_EEEEENS4_IJSJ_SK_SL_SZ_SP_S10_EEENS4_IJSN_SO_SP_NSI_IJLi6EEEENSI_IJLi7ELi8EEEENSI_IJLi9EEEEEEENSI_IJLi6ELi7ELi8ELi9EEEElEENS3_INS4_IJSU_SE_SG_SG_S1D_S1E_EEENS4_IJSJ_SL_SK_SZ_SP_S10_EEES1K_S1L_lEENS3_INS4_IJSU_SG_SG_NSB_INS4_IJiNS7_IiLi2EEENS7_IiLi64EEEEEELb0EEES1T_EEENS4_IJSJ_SL_SK_SZ_S10_EEENS4_IJSN_SZ_S10_NSI_IJLi5ELi6ELi7EEEENSI_IJLi8ELi9ELi10EEEEEEENSI_IJLi5ELi6ELi7ELi8ELi9ELi10EEEElEENS_31BlockToCTileMap_M00_N00_M01_N01ILi128ELi128ES12_Lb0EEELb0ELb0EEEvPKT0_S25_PT1_T2_T3_T4_T5_, .Lfunc_end5-_ZN2ck19kernel_gemm_dl_v1r3INS_28GridwiseGemmDl_km_kn_mn_v1r3ILi256EaiaLNS_25InMemoryDataOperationEnumE0ENS_16TensorDescriptorINS_5TupleIJNS_5EmbedINS4_IJiiEEENS4_IJNS_17integral_constantIiLi1EEEiEEELb0EEENS_7UnMergeINS4_IJiNS7_IiLi4EEEEEELb0EEENS_11PassThroughIiEEEEENS4_IJNS_8SequenceIJLi0EEEENSI_IJLi2EEEENSI_IJLi1EEEEEEENS4_IJNSI_IJLi1ELi2EEEENSI_IJLi3ELi4EEEENSI_IJLi5EEEEEEENSI_IJLi3ELi5ELi4EEEElEENS3_INS4_IJNS5_IS6_NS4_IJiS8_EEELb0EEESE_SG_EEENS4_IJSJ_SL_SK_EEESQ_SR_lEENS3_INS4_IJSU_SG_SG_EEESW_NS4_IJSN_NSI_IJLi3EEEENSI_IJLi4EEEEEEESO_lEELi128ELi128ELi16ELi4ELi4ELi4ELi1ENSI_IJLi8ELi2EEEES13_NSI_IJLi2ELi1ELi4ELi4EEEENSI_IJLi8ELi1ELi32ELi1EEEENSI_IJLi0ELi3ELi1ELi2EEEES16_NSI_IJLi1ELi1ELi4ELi1EEEES16_NSI_IJLi1ELi1ELi4ELi4EEEES14_S15_S16_S16_S17_S16_S18_NSI_IJLi0ELi1ELi2ELi3ELi4ELi5EEEELi5ELi4EEEaaNS3_INS4_IJSA_SE_SG_SG_NSB_INS4_IJiNS7_IiLi128EEEEEELb0EEENSF_ISC_EEEEENS4_IJSJ_SK_SL_SZ_SP_S10_EEENS4_IJSN_SO_SP_NSI_IJLi6EEEENSI_IJLi7ELi8EEEENSI_IJLi9EEEEEEENSI_IJLi6ELi7ELi8ELi9EEEElEENS3_INS4_IJSU_SE_SG_SG_S1D_S1E_EEENS4_IJSJ_SL_SK_SZ_SP_S10_EEES1K_S1L_lEENS3_INS4_IJSU_SG_SG_NSB_INS4_IJiNS7_IiLi2EEENS7_IiLi64EEEEEELb0EEES1T_EEENS4_IJSJ_SL_SK_SZ_S10_EEENS4_IJSN_SZ_S10_NSI_IJLi5ELi6ELi7EEEENSI_IJLi8ELi9ELi10EEEEEEENSI_IJLi5ELi6ELi7ELi8ELi9ELi10EEEElEENS_31BlockToCTileMap_M00_N00_M01_N01ILi128ELi128ES12_Lb0EEELb0ELb0EEEvPKT0_S25_PT1_T2_T3_T4_T5_
                                        ; -- End function
	.section	.AMDGPU.csdata,"",@progbits
; Kernel info:
; codeLenInByte = 3444
; NumSgprs: 39
; NumVgprs: 86
; NumAgprs: 0
; TotalNumVgprs: 86
; ScratchSize: 448
; MemoryBound: 0
; FloatMode: 240
; IeeeMode: 1
; LDSByteSize: 32768 bytes/workgroup (compile time only)
; SGPRBlocks: 4
; VGPRBlocks: 10
; NumSGPRsForWavesPerEU: 39
; NumVGPRsForWavesPerEU: 86
; AccumOffset: 88
; Occupancy: 2
; WaveLimiterHint : 1
; COMPUTE_PGM_RSRC2:SCRATCH_EN: 1
; COMPUTE_PGM_RSRC2:USER_SGPR: 2
; COMPUTE_PGM_RSRC2:TRAP_HANDLER: 0
; COMPUTE_PGM_RSRC2:TGID_X_EN: 1
; COMPUTE_PGM_RSRC2:TGID_Y_EN: 0
; COMPUTE_PGM_RSRC2:TGID_Z_EN: 0
; COMPUTE_PGM_RSRC2:TIDIG_COMP_CNT: 0
; COMPUTE_PGM_RSRC3_GFX90A:ACCUM_OFFSET: 21
; COMPUTE_PGM_RSRC3_GFX90A:TG_SPLIT: 0
	.section	.text._ZN2ck17naive_gemm_kernelINS_13tensor_layout4gemm11ColumnMajorENS2_8RowMajorES4_aaaiNS_16tensor_operation12element_wise11PassThroughES7_S7_aaEEvPKT2_PKT3_PT4_iiiT6_T7_T8_,"axG",@progbits,_ZN2ck17naive_gemm_kernelINS_13tensor_layout4gemm11ColumnMajorENS2_8RowMajorES4_aaaiNS_16tensor_operation12element_wise11PassThroughES7_S7_aaEEvPKT2_PKT3_PT4_iiiT6_T7_T8_,comdat
	.protected	_ZN2ck17naive_gemm_kernelINS_13tensor_layout4gemm11ColumnMajorENS2_8RowMajorES4_aaaiNS_16tensor_operation12element_wise11PassThroughES7_S7_aaEEvPKT2_PKT3_PT4_iiiT6_T7_T8_ ; -- Begin function _ZN2ck17naive_gemm_kernelINS_13tensor_layout4gemm11ColumnMajorENS2_8RowMajorES4_aaaiNS_16tensor_operation12element_wise11PassThroughES7_S7_aaEEvPKT2_PKT3_PT4_iiiT6_T7_T8_
	.globl	_ZN2ck17naive_gemm_kernelINS_13tensor_layout4gemm11ColumnMajorENS2_8RowMajorES4_aaaiNS_16tensor_operation12element_wise11PassThroughES7_S7_aaEEvPKT2_PKT3_PT4_iiiT6_T7_T8_
	.p2align	8
	.type	_ZN2ck17naive_gemm_kernelINS_13tensor_layout4gemm11ColumnMajorENS2_8RowMajorES4_aaaiNS_16tensor_operation12element_wise11PassThroughES7_S7_aaEEvPKT2_PKT3_PT4_iiiT6_T7_T8_,@function
_ZN2ck17naive_gemm_kernelINS_13tensor_layout4gemm11ColumnMajorENS2_8RowMajorES4_aaaiNS_16tensor_operation12element_wise11PassThroughES7_S7_aaEEvPKT2_PKT3_PT4_iiiT6_T7_T8_: ; @_ZN2ck17naive_gemm_kernelINS_13tensor_layout4gemm11ColumnMajorENS2_8RowMajorES4_aaaiNS_16tensor_operation12element_wise11PassThroughES7_S7_aaEEvPKT2_PKT3_PT4_iiiT6_T7_T8_
; %bb.0:
	s_load_dword s8, s[0:1], 0x34
	s_load_dwordx4 s[4:7], s[0:1], 0x18
	v_and_b32_e32 v6, 0x3ff, v0
	v_bfe_u32 v7, v0, 10, 10
	s_waitcnt lgkmcnt(0)
	s_lshr_b32 s9, s8, 16
	s_and_b32 s7, s8, 0xffff
	s_mul_i32 s7, s2, s7
	s_mul_i32 s14, s3, s9
	v_add_u32_e32 v1, s7, v6
	v_add_u32_e32 v0, s14, v7
	v_cmp_gt_i32_e32 vcc, s4, v1
	v_cmp_gt_i32_e64 s[2:3], s5, v0
	s_and_b64 s[2:3], vcc, s[2:3]
	s_and_saveexec_b64 s[8:9], s[2:3]
	s_cbranch_execz .LBB6_15
; %bb.1:
	s_cmp_lt_i32 s6, 1
	s_cbranch_scc1 .LBB6_7
; %bb.2:
	s_load_dwordx4 s[8:11], s[0:1], 0x0
	s_cmp_lt_u32 s6, 6
	s_cselect_b64 s[12:13], -1, 0
	s_cmp_gt_u32 s6, 5
	v_mov_b32_e32 v8, 0
	s_cbranch_scc0 .LBB6_8
; %bb.3:
	s_cmp_eq_u32 s4, 1
	s_cselect_b64 s[12:13], -1, 0
	s_add_i32 s2, s6, -1
	s_cmp_eq_u32 s5, 1
	v_add_u32_e32 v2, s2, v1
	s_cselect_b64 s[16:17], -1, 0
	v_cmp_ge_i32_e32 vcc, v2, v1
	v_add_u32_e32 v2, s2, v0
	s_and_b64 s[12:13], s[12:13], s[16:17]
	v_cmp_ge_i32_e64 s[2:3], v2, v0
	s_and_b64 s[12:13], s[12:13], vcc
	s_and_b64 s[16:17], s[12:13], s[2:3]
	s_mov_b64 s[12:13], -1
	v_mov_b32_e32 v8, 0
	v_mov_b32_e32 v3, 0
	s_and_saveexec_b64 s[2:3], s[16:17]
	s_cbranch_execz .LBB6_9
; %bb.4:
	s_and_b32 s12, s6, 0x7ffffffe
	v_mov_b32_e32 v8, 0
	s_mov_b32 s13, s12
	v_mov_b32_e32 v2, v0
	v_mov_b32_e32 v4, v1
	;; [unrolled: 1-line block ×3, first 2 shown]
.LBB6_5:                                ; =>This Inner Loop Header: Depth=1
	v_ashrrev_i32_e32 v5, 31, v4
	s_waitcnt lgkmcnt(0)
	v_lshl_add_u64 v[10:11], s[8:9], 0, v[4:5]
	v_ashrrev_i32_e32 v3, 31, v2
	global_load_ushort v5, v[10:11], off
	v_lshl_add_u64 v[10:11], s[10:11], 0, v[2:3]
	global_load_ushort v3, v[10:11], off
	s_add_i32 s13, s13, -2
	v_add_u32_e32 v4, 2, v4
	s_cmp_lg_u32 s13, 0
	v_add_u32_e32 v2, 2, v2
	s_waitcnt vmcnt(1)
	v_and_b32_e32 v10, 0xff, v5
	v_lshrrev_b16_e32 v5, 8, v5
	s_waitcnt vmcnt(0)
	v_and_b32_e32 v11, 0xff, v3
	v_lshrrev_b16_e32 v3, 8, v3
	v_mad_u32_u24 v9, v3, v5, v9
	v_mad_u32_u24 v8, v11, v10, v8
	s_cbranch_scc1 .LBB6_5
; %bb.6:
	s_cmp_lg_u32 s12, s6
	s_cselect_b64 s[16:17], -1, 0
	v_add_u32_e32 v8, v8, v9
	v_mov_b32_e32 v3, s12
	s_orn2_b64 s[12:13], s[16:17], exec
	s_or_b64 exec, exec, s[2:3]
	s_and_saveexec_b64 s[2:3], s[12:13]
	s_cbranch_execnz .LBB6_10
	s_branch .LBB6_13
.LBB6_7:
	v_mov_b32_e32 v8, 0
	s_branch .LBB6_14
.LBB6_8:
	v_mov_b32_e32 v3, 0
	s_and_saveexec_b64 s[2:3], s[12:13]
	s_cbranch_execnz .LBB6_10
	s_branch .LBB6_13
.LBB6_9:
	s_or_b64 exec, exec, s[2:3]
	s_and_saveexec_b64 s[2:3], s[12:13]
	s_cbranch_execz .LBB6_13
.LBB6_10:
	v_sub_u32_e32 v9, s6, v3
	v_mul_lo_u32 v2, v3, s5
	v_mul_lo_u32 v3, v3, s4
	v_add3_u32 v2, v7, v2, s14
	v_add3_u32 v4, v6, v3, s7
	s_mov_b64 s[6:7], 0
.LBB6_11:                               ; =>This Inner Loop Header: Depth=1
	v_ashrrev_i32_e32 v5, 31, v4
	s_waitcnt lgkmcnt(0)
	v_lshl_add_u64 v[6:7], s[8:9], 0, v[4:5]
	v_ashrrev_i32_e32 v3, 31, v2
	global_load_ubyte v5, v[6:7], off
	v_lshl_add_u64 v[6:7], s[10:11], 0, v[2:3]
	global_load_ubyte v3, v[6:7], off
	v_add_u32_e32 v9, -1, v9
	v_cmp_eq_u32_e32 vcc, 0, v9
	v_add_u32_e32 v2, s5, v2
	s_or_b64 s[6:7], vcc, s[6:7]
	v_add_u32_e32 v4, s4, v4
	s_waitcnt vmcnt(0)
	v_mad_u32_u24 v8, v3, v5, v8
	s_andn2_b64 exec, exec, s[6:7]
	s_cbranch_execnz .LBB6_11
; %bb.12:
	s_or_b64 exec, exec, s[6:7]
.LBB6_13:
	s_or_b64 exec, exec, s[2:3]
.LBB6_14:
	s_load_dwordx2 s[0:1], s[0:1], 0x10
	v_mad_u64_u32 v[0:1], s[2:3], v1, s5, v[0:1]
	v_ashrrev_i32_e32 v1, 31, v0
	s_waitcnt lgkmcnt(0)
	v_lshl_add_u64 v[0:1], s[0:1], 0, v[0:1]
	global_store_byte v[0:1], v8, off
.LBB6_15:
	s_endpgm
	.section	.rodata,"a",@progbits
	.p2align	6, 0x0
	.amdhsa_kernel _ZN2ck17naive_gemm_kernelINS_13tensor_layout4gemm11ColumnMajorENS2_8RowMajorES4_aaaiNS_16tensor_operation12element_wise11PassThroughES7_S7_aaEEvPKT2_PKT3_PT4_iiiT6_T7_T8_
		.amdhsa_group_segment_fixed_size 0
		.amdhsa_private_segment_fixed_size 0
		.amdhsa_kernarg_size 296
		.amdhsa_user_sgpr_count 2
		.amdhsa_user_sgpr_dispatch_ptr 0
		.amdhsa_user_sgpr_queue_ptr 0
		.amdhsa_user_sgpr_kernarg_segment_ptr 1
		.amdhsa_user_sgpr_dispatch_id 0
		.amdhsa_user_sgpr_kernarg_preload_length 0
		.amdhsa_user_sgpr_kernarg_preload_offset 0
		.amdhsa_user_sgpr_private_segment_size 0
		.amdhsa_uses_dynamic_stack 0
		.amdhsa_enable_private_segment 0
		.amdhsa_system_sgpr_workgroup_id_x 1
		.amdhsa_system_sgpr_workgroup_id_y 1
		.amdhsa_system_sgpr_workgroup_id_z 0
		.amdhsa_system_sgpr_workgroup_info 0
		.amdhsa_system_vgpr_workitem_id 1
		.amdhsa_next_free_vgpr 12
		.amdhsa_next_free_sgpr 18
		.amdhsa_accum_offset 12
		.amdhsa_reserve_vcc 1
		.amdhsa_float_round_mode_32 0
		.amdhsa_float_round_mode_16_64 0
		.amdhsa_float_denorm_mode_32 3
		.amdhsa_float_denorm_mode_16_64 3
		.amdhsa_dx10_clamp 1
		.amdhsa_ieee_mode 1
		.amdhsa_fp16_overflow 0
		.amdhsa_tg_split 0
		.amdhsa_exception_fp_ieee_invalid_op 0
		.amdhsa_exception_fp_denorm_src 0
		.amdhsa_exception_fp_ieee_div_zero 0
		.amdhsa_exception_fp_ieee_overflow 0
		.amdhsa_exception_fp_ieee_underflow 0
		.amdhsa_exception_fp_ieee_inexact 0
		.amdhsa_exception_int_div_zero 0
	.end_amdhsa_kernel
	.section	.text._ZN2ck17naive_gemm_kernelINS_13tensor_layout4gemm11ColumnMajorENS2_8RowMajorES4_aaaiNS_16tensor_operation12element_wise11PassThroughES7_S7_aaEEvPKT2_PKT3_PT4_iiiT6_T7_T8_,"axG",@progbits,_ZN2ck17naive_gemm_kernelINS_13tensor_layout4gemm11ColumnMajorENS2_8RowMajorES4_aaaiNS_16tensor_operation12element_wise11PassThroughES7_S7_aaEEvPKT2_PKT3_PT4_iiiT6_T7_T8_,comdat
.Lfunc_end6:
	.size	_ZN2ck17naive_gemm_kernelINS_13tensor_layout4gemm11ColumnMajorENS2_8RowMajorES4_aaaiNS_16tensor_operation12element_wise11PassThroughES7_S7_aaEEvPKT2_PKT3_PT4_iiiT6_T7_T8_, .Lfunc_end6-_ZN2ck17naive_gemm_kernelINS_13tensor_layout4gemm11ColumnMajorENS2_8RowMajorES4_aaaiNS_16tensor_operation12element_wise11PassThroughES7_S7_aaEEvPKT2_PKT3_PT4_iiiT6_T7_T8_
                                        ; -- End function
	.section	.AMDGPU.csdata,"",@progbits
; Kernel info:
; codeLenInByte = 584
; NumSgprs: 24
; NumVgprs: 12
; NumAgprs: 0
; TotalNumVgprs: 12
; ScratchSize: 0
; MemoryBound: 0
; FloatMode: 240
; IeeeMode: 1
; LDSByteSize: 0 bytes/workgroup (compile time only)
; SGPRBlocks: 2
; VGPRBlocks: 1
; NumSGPRsForWavesPerEU: 24
; NumVGPRsForWavesPerEU: 12
; AccumOffset: 12
; Occupancy: 8
; WaveLimiterHint : 0
; COMPUTE_PGM_RSRC2:SCRATCH_EN: 0
; COMPUTE_PGM_RSRC2:USER_SGPR: 2
; COMPUTE_PGM_RSRC2:TRAP_HANDLER: 0
; COMPUTE_PGM_RSRC2:TGID_X_EN: 1
; COMPUTE_PGM_RSRC2:TGID_Y_EN: 1
; COMPUTE_PGM_RSRC2:TGID_Z_EN: 0
; COMPUTE_PGM_RSRC2:TIDIG_COMP_CNT: 1
; COMPUTE_PGM_RSRC3_GFX90A:ACCUM_OFFSET: 2
; COMPUTE_PGM_RSRC3_GFX90A:TG_SPLIT: 0
	.text
	.p2alignl 6, 3212836864
	.fill 256, 4, 3212836864
	.type	__hip_cuid_f9df47ddff47ab0b,@object ; @__hip_cuid_f9df47ddff47ab0b
	.section	.bss,"aw",@nobits
	.globl	__hip_cuid_f9df47ddff47ab0b
__hip_cuid_f9df47ddff47ab0b:
	.byte	0                               ; 0x0
	.size	__hip_cuid_f9df47ddff47ab0b, 1

	.ident	"AMD clang version 19.0.0git (https://github.com/RadeonOpenCompute/llvm-project roc-6.4.0 25133 c7fe45cf4b819c5991fe208aaa96edf142730f1d)"
	.section	".note.GNU-stack","",@progbits
	.addrsig
	.addrsig_sym __hip_cuid_f9df47ddff47ab0b
	.amdgpu_metadata
---
amdhsa.kernels:
  - .agpr_count:     0
    .args:           []
    .group_segment_fixed_size: 0
    .kernarg_segment_align: 4
    .kernarg_segment_size: 0
    .language:       OpenCL C
    .language_version:
      - 2
      - 0
    .max_flat_workgroup_size: 1024
    .name:           _ZN2ckL12flush_icacheEv
    .private_segment_fixed_size: 0
    .sgpr_count:     6
    .sgpr_spill_count: 0
    .symbol:         _ZN2ckL12flush_icacheEv.kd
    .uniform_work_group_size: 1
    .uses_dynamic_stack: false
    .vgpr_count:     0
    .vgpr_spill_count: 0
    .wavefront_size: 64
  - .agpr_count:     0
    .args:
      - .address_space:  global
        .offset:         0
        .size:           8
        .value_kind:     global_buffer
      - .address_space:  global
        .offset:         8
        .size:           8
        .value_kind:     global_buffer
      - .address_space:  global
        .offset:         16
        .size:           8
        .value_kind:     global_buffer
      - .offset:         24
        .size:           64
        .value_kind:     by_value
      - .offset:         88
        .size:           64
        .value_kind:     by_value
      - .offset:         152
        .size:           64
        .value_kind:     by_value
      - .offset:         216
        .size:           112
        .value_kind:     by_value
    .group_segment_fixed_size: 32768
    .kernarg_segment_align: 8
    .kernarg_segment_size: 328
    .language:       OpenCL C
    .language_version:
      - 2
      - 0
    .max_flat_workgroup_size: 256
    .name:           _ZN2ck19kernel_gemm_dl_v1r3INS_28GridwiseGemmDl_km_kn_mn_v1r3ILi256EaiaLNS_25InMemoryDataOperationEnumE0ENS_16TensorDescriptorINS_5TupleIJNS_5EmbedINS4_IJiiEEENS4_IJNS_17integral_constantIiLi1EEEiEEELb0EEENS_7UnMergeINS4_IJiNS7_IiLi4EEEEEELb0EEENS_11PassThroughIiEEEEENS4_IJNS_8SequenceIJLi0EEEENSI_IJLi2EEEENSI_IJLi1EEEEEEENS4_IJNSI_IJLi1ELi2EEEENSI_IJLi3ELi4EEEENSI_IJLi5EEEEEEENSI_IJLi3ELi5ELi4EEEElEENS3_INS4_IJNS5_IS6_NS4_IJiS8_EEELb0EEESE_SG_EEENS4_IJSJ_SL_SK_EEESQ_SR_lEENS3_INS4_IJSU_SG_SG_EEESW_NS4_IJSN_NSI_IJLi3EEEENSI_IJLi4EEEEEEESO_lEELi128ELi128ELi16ELi4ELi4ELi4ELi1ENSI_IJLi8ELi2EEEES13_NSI_IJLi2ELi1ELi4ELi4EEEENSI_IJLi8ELi1ELi32ELi1EEEENSI_IJLi0ELi3ELi1ELi2EEEES16_NSI_IJLi1ELi1ELi4ELi1EEEES16_NSI_IJLi1ELi1ELi4ELi4EEEES14_S15_S16_S16_S17_S16_S18_NSI_IJLi0ELi1ELi2ELi3ELi4ELi5EEEELi5ELi4EEEaaNS3_INS4_IJSA_SE_SG_SG_NSB_INS4_IJiNS7_IiLi128EEEEEELb0EEENSF_ISC_EEEEENS4_IJSJ_SK_SL_SZ_SP_S10_EEENS4_IJSN_SO_SP_NSI_IJLi6EEEENSI_IJLi7ELi8EEEENSI_IJLi9EEEEEEENSI_IJLi6ELi7ELi8ELi9EEEElEENS3_INS4_IJSU_SE_SG_SG_S1D_S1E_EEENS4_IJSJ_SL_SK_SZ_SP_S10_EEES1K_S1L_lEENS3_INS4_IJSU_SG_SG_NSB_INS4_IJiNS7_IiLi2EEENS7_IiLi64EEEEEELb0EEES1T_EEENS4_IJSJ_SL_SK_SZ_S10_EEENS4_IJSN_SZ_S10_NSI_IJLi5ELi6ELi7EEEENSI_IJLi8ELi9ELi10EEEEEEENSI_IJLi5ELi6ELi7ELi8ELi9ELi10EEEElEENS_31BlockToCTileMap_M00_N00_M01_N01ILi128ELi128ES12_Lb0EEELb1ELb1EEEvPKT0_S25_PT1_T2_T3_T4_T5_
    .private_segment_fixed_size: 480
    .sgpr_count:     52
    .sgpr_spill_count: 0
    .symbol:         _ZN2ck19kernel_gemm_dl_v1r3INS_28GridwiseGemmDl_km_kn_mn_v1r3ILi256EaiaLNS_25InMemoryDataOperationEnumE0ENS_16TensorDescriptorINS_5TupleIJNS_5EmbedINS4_IJiiEEENS4_IJNS_17integral_constantIiLi1EEEiEEELb0EEENS_7UnMergeINS4_IJiNS7_IiLi4EEEEEELb0EEENS_11PassThroughIiEEEEENS4_IJNS_8SequenceIJLi0EEEENSI_IJLi2EEEENSI_IJLi1EEEEEEENS4_IJNSI_IJLi1ELi2EEEENSI_IJLi3ELi4EEEENSI_IJLi5EEEEEEENSI_IJLi3ELi5ELi4EEEElEENS3_INS4_IJNS5_IS6_NS4_IJiS8_EEELb0EEESE_SG_EEENS4_IJSJ_SL_SK_EEESQ_SR_lEENS3_INS4_IJSU_SG_SG_EEESW_NS4_IJSN_NSI_IJLi3EEEENSI_IJLi4EEEEEEESO_lEELi128ELi128ELi16ELi4ELi4ELi4ELi1ENSI_IJLi8ELi2EEEES13_NSI_IJLi2ELi1ELi4ELi4EEEENSI_IJLi8ELi1ELi32ELi1EEEENSI_IJLi0ELi3ELi1ELi2EEEES16_NSI_IJLi1ELi1ELi4ELi1EEEES16_NSI_IJLi1ELi1ELi4ELi4EEEES14_S15_S16_S16_S17_S16_S18_NSI_IJLi0ELi1ELi2ELi3ELi4ELi5EEEELi5ELi4EEEaaNS3_INS4_IJSA_SE_SG_SG_NSB_INS4_IJiNS7_IiLi128EEEEEELb0EEENSF_ISC_EEEEENS4_IJSJ_SK_SL_SZ_SP_S10_EEENS4_IJSN_SO_SP_NSI_IJLi6EEEENSI_IJLi7ELi8EEEENSI_IJLi9EEEEEEENSI_IJLi6ELi7ELi8ELi9EEEElEENS3_INS4_IJSU_SE_SG_SG_S1D_S1E_EEENS4_IJSJ_SL_SK_SZ_SP_S10_EEES1K_S1L_lEENS3_INS4_IJSU_SG_SG_NSB_INS4_IJiNS7_IiLi2EEENS7_IiLi64EEEEEELb0EEES1T_EEENS4_IJSJ_SL_SK_SZ_S10_EEENS4_IJSN_SZ_S10_NSI_IJLi5ELi6ELi7EEEENSI_IJLi8ELi9ELi10EEEEEEENSI_IJLi5ELi6ELi7ELi8ELi9ELi10EEEElEENS_31BlockToCTileMap_M00_N00_M01_N01ILi128ELi128ES12_Lb0EEELb1ELb1EEEvPKT0_S25_PT1_T2_T3_T4_T5_.kd
    .uniform_work_group_size: 1
    .uses_dynamic_stack: false
    .vgpr_count:     146
    .vgpr_spill_count: 0
    .wavefront_size: 64
  - .agpr_count:     0
    .args:
      - .address_space:  global
        .offset:         0
        .size:           8
        .value_kind:     global_buffer
      - .address_space:  global
        .offset:         8
        .size:           8
        .value_kind:     global_buffer
      - .address_space:  global
        .offset:         16
        .size:           8
        .value_kind:     global_buffer
      - .offset:         24
        .size:           64
        .value_kind:     by_value
      - .offset:         88
        .size:           64
        .value_kind:     by_value
      - .offset:         152
        .size:           64
        .value_kind:     by_value
      - .offset:         216
        .size:           112
        .value_kind:     by_value
    .group_segment_fixed_size: 32768
    .kernarg_segment_align: 8
    .kernarg_segment_size: 328
    .language:       OpenCL C
    .language_version:
      - 2
      - 0
    .max_flat_workgroup_size: 256
    .name:           _ZN2ck19kernel_gemm_dl_v1r3INS_28GridwiseGemmDl_km_kn_mn_v1r3ILi256EaiaLNS_25InMemoryDataOperationEnumE0ENS_16TensorDescriptorINS_5TupleIJNS_5EmbedINS4_IJiiEEENS4_IJNS_17integral_constantIiLi1EEEiEEELb0EEENS_7UnMergeINS4_IJiNS7_IiLi4EEEEEELb0EEENS_11PassThroughIiEEEEENS4_IJNS_8SequenceIJLi0EEEENSI_IJLi2EEEENSI_IJLi1EEEEEEENS4_IJNSI_IJLi1ELi2EEEENSI_IJLi3ELi4EEEENSI_IJLi5EEEEEEENSI_IJLi3ELi5ELi4EEEElEENS3_INS4_IJNS5_IS6_NS4_IJiS8_EEELb0EEESE_SG_EEENS4_IJSJ_SL_SK_EEESQ_SR_lEENS3_INS4_IJSU_SG_SG_EEESW_NS4_IJSN_NSI_IJLi3EEEENSI_IJLi4EEEEEEESO_lEELi128ELi128ELi16ELi4ELi4ELi4ELi1ENSI_IJLi8ELi2EEEES13_NSI_IJLi2ELi1ELi4ELi4EEEENSI_IJLi8ELi1ELi32ELi1EEEENSI_IJLi0ELi3ELi1ELi2EEEES16_NSI_IJLi1ELi1ELi4ELi1EEEES16_NSI_IJLi1ELi1ELi4ELi4EEEES14_S15_S16_S16_S17_S16_S18_NSI_IJLi0ELi1ELi2ELi3ELi4ELi5EEEELi5ELi4EEEaaNS3_INS4_IJSA_SE_SG_SG_NSB_INS4_IJiNS7_IiLi128EEEEEELb0EEENSF_ISC_EEEEENS4_IJSJ_SK_SL_SZ_SP_S10_EEENS4_IJSN_SO_SP_NSI_IJLi6EEEENSI_IJLi7ELi8EEEENSI_IJLi9EEEEEEENSI_IJLi6ELi7ELi8ELi9EEEElEENS3_INS4_IJSU_SE_SG_SG_S1D_S1E_EEENS4_IJSJ_SL_SK_SZ_SP_S10_EEES1K_S1L_lEENS3_INS4_IJSU_SG_SG_NSB_INS4_IJiNS7_IiLi2EEENS7_IiLi64EEEEEELb0EEES1T_EEENS4_IJSJ_SL_SK_SZ_S10_EEENS4_IJSN_SZ_S10_NSI_IJLi5ELi6ELi7EEEENSI_IJLi8ELi9ELi10EEEEEEENSI_IJLi5ELi6ELi7ELi8ELi9ELi10EEEElEENS_31BlockToCTileMap_M00_N00_M01_N01ILi128ELi128ES12_Lb0EEELb1ELb0EEEvPKT0_S25_PT1_T2_T3_T4_T5_
    .private_segment_fixed_size: 480
    .sgpr_count:     50
    .sgpr_spill_count: 0
    .symbol:         _ZN2ck19kernel_gemm_dl_v1r3INS_28GridwiseGemmDl_km_kn_mn_v1r3ILi256EaiaLNS_25InMemoryDataOperationEnumE0ENS_16TensorDescriptorINS_5TupleIJNS_5EmbedINS4_IJiiEEENS4_IJNS_17integral_constantIiLi1EEEiEEELb0EEENS_7UnMergeINS4_IJiNS7_IiLi4EEEEEELb0EEENS_11PassThroughIiEEEEENS4_IJNS_8SequenceIJLi0EEEENSI_IJLi2EEEENSI_IJLi1EEEEEEENS4_IJNSI_IJLi1ELi2EEEENSI_IJLi3ELi4EEEENSI_IJLi5EEEEEEENSI_IJLi3ELi5ELi4EEEElEENS3_INS4_IJNS5_IS6_NS4_IJiS8_EEELb0EEESE_SG_EEENS4_IJSJ_SL_SK_EEESQ_SR_lEENS3_INS4_IJSU_SG_SG_EEESW_NS4_IJSN_NSI_IJLi3EEEENSI_IJLi4EEEEEEESO_lEELi128ELi128ELi16ELi4ELi4ELi4ELi1ENSI_IJLi8ELi2EEEES13_NSI_IJLi2ELi1ELi4ELi4EEEENSI_IJLi8ELi1ELi32ELi1EEEENSI_IJLi0ELi3ELi1ELi2EEEES16_NSI_IJLi1ELi1ELi4ELi1EEEES16_NSI_IJLi1ELi1ELi4ELi4EEEES14_S15_S16_S16_S17_S16_S18_NSI_IJLi0ELi1ELi2ELi3ELi4ELi5EEEELi5ELi4EEEaaNS3_INS4_IJSA_SE_SG_SG_NSB_INS4_IJiNS7_IiLi128EEEEEELb0EEENSF_ISC_EEEEENS4_IJSJ_SK_SL_SZ_SP_S10_EEENS4_IJSN_SO_SP_NSI_IJLi6EEEENSI_IJLi7ELi8EEEENSI_IJLi9EEEEEEENSI_IJLi6ELi7ELi8ELi9EEEElEENS3_INS4_IJSU_SE_SG_SG_S1D_S1E_EEENS4_IJSJ_SL_SK_SZ_SP_S10_EEES1K_S1L_lEENS3_INS4_IJSU_SG_SG_NSB_INS4_IJiNS7_IiLi2EEENS7_IiLi64EEEEEELb0EEES1T_EEENS4_IJSJ_SL_SK_SZ_S10_EEENS4_IJSN_SZ_S10_NSI_IJLi5ELi6ELi7EEEENSI_IJLi8ELi9ELi10EEEEEEENSI_IJLi5ELi6ELi7ELi8ELi9ELi10EEEElEENS_31BlockToCTileMap_M00_N00_M01_N01ILi128ELi128ES12_Lb0EEELb1ELb0EEEvPKT0_S25_PT1_T2_T3_T4_T5_.kd
    .uniform_work_group_size: 1
    .uses_dynamic_stack: false
    .vgpr_count:     138
    .vgpr_spill_count: 0
    .wavefront_size: 64
  - .agpr_count:     0
    .args:
      - .address_space:  global
        .offset:         0
        .size:           8
        .value_kind:     global_buffer
      - .address_space:  global
        .offset:         8
        .size:           8
        .value_kind:     global_buffer
      - .address_space:  global
        .offset:         16
        .size:           8
        .value_kind:     global_buffer
      - .offset:         24
        .size:           64
        .value_kind:     by_value
      - .offset:         88
        .size:           64
        .value_kind:     by_value
      - .offset:         152
        .size:           64
        .value_kind:     by_value
      - .offset:         216
        .size:           112
        .value_kind:     by_value
    .group_segment_fixed_size: 32768
    .kernarg_segment_align: 8
    .kernarg_segment_size: 328
    .language:       OpenCL C
    .language_version:
      - 2
      - 0
    .max_flat_workgroup_size: 256
    .name:           _ZN2ck19kernel_gemm_dl_v1r3INS_28GridwiseGemmDl_km_kn_mn_v1r3ILi256EaiaLNS_25InMemoryDataOperationEnumE0ENS_16TensorDescriptorINS_5TupleIJNS_5EmbedINS4_IJiiEEENS4_IJNS_17integral_constantIiLi1EEEiEEELb0EEENS_7UnMergeINS4_IJiNS7_IiLi4EEEEEELb0EEENS_11PassThroughIiEEEEENS4_IJNS_8SequenceIJLi0EEEENSI_IJLi2EEEENSI_IJLi1EEEEEEENS4_IJNSI_IJLi1ELi2EEEENSI_IJLi3ELi4EEEENSI_IJLi5EEEEEEENSI_IJLi3ELi5ELi4EEEElEENS3_INS4_IJNS5_IS6_NS4_IJiS8_EEELb0EEESE_SG_EEENS4_IJSJ_SL_SK_EEESQ_SR_lEENS3_INS4_IJSU_SG_SG_EEESW_NS4_IJSN_NSI_IJLi3EEEENSI_IJLi4EEEEEEESO_lEELi128ELi128ELi16ELi4ELi4ELi4ELi1ENSI_IJLi8ELi2EEEES13_NSI_IJLi2ELi1ELi4ELi4EEEENSI_IJLi8ELi1ELi32ELi1EEEENSI_IJLi0ELi3ELi1ELi2EEEES16_NSI_IJLi1ELi1ELi4ELi1EEEES16_NSI_IJLi1ELi1ELi4ELi4EEEES14_S15_S16_S16_S17_S16_S18_NSI_IJLi0ELi1ELi2ELi3ELi4ELi5EEEELi5ELi4EEEaaNS3_INS4_IJSA_SE_SG_SG_NSB_INS4_IJiNS7_IiLi128EEEEEELb0EEENSF_ISC_EEEEENS4_IJSJ_SK_SL_SZ_SP_S10_EEENS4_IJSN_SO_SP_NSI_IJLi6EEEENSI_IJLi7ELi8EEEENSI_IJLi9EEEEEEENSI_IJLi6ELi7ELi8ELi9EEEElEENS3_INS4_IJSU_SE_SG_SG_S1D_S1E_EEENS4_IJSJ_SL_SK_SZ_SP_S10_EEES1K_S1L_lEENS3_INS4_IJSU_SG_SG_NSB_INS4_IJiNS7_IiLi2EEENS7_IiLi64EEEEEELb0EEES1T_EEENS4_IJSJ_SL_SK_SZ_S10_EEENS4_IJSN_SZ_S10_NSI_IJLi5ELi6ELi7EEEENSI_IJLi8ELi9ELi10EEEEEEENSI_IJLi5ELi6ELi7ELi8ELi9ELi10EEEElEENS_31BlockToCTileMap_M00_N00_M01_N01ILi128ELi128ES12_Lb0EEELb0ELb1EEEvPKT0_S25_PT1_T2_T3_T4_T5_
    .private_segment_fixed_size: 480
    .sgpr_count:     46
    .sgpr_spill_count: 0
    .symbol:         _ZN2ck19kernel_gemm_dl_v1r3INS_28GridwiseGemmDl_km_kn_mn_v1r3ILi256EaiaLNS_25InMemoryDataOperationEnumE0ENS_16TensorDescriptorINS_5TupleIJNS_5EmbedINS4_IJiiEEENS4_IJNS_17integral_constantIiLi1EEEiEEELb0EEENS_7UnMergeINS4_IJiNS7_IiLi4EEEEEELb0EEENS_11PassThroughIiEEEEENS4_IJNS_8SequenceIJLi0EEEENSI_IJLi2EEEENSI_IJLi1EEEEEEENS4_IJNSI_IJLi1ELi2EEEENSI_IJLi3ELi4EEEENSI_IJLi5EEEEEEENSI_IJLi3ELi5ELi4EEEElEENS3_INS4_IJNS5_IS6_NS4_IJiS8_EEELb0EEESE_SG_EEENS4_IJSJ_SL_SK_EEESQ_SR_lEENS3_INS4_IJSU_SG_SG_EEESW_NS4_IJSN_NSI_IJLi3EEEENSI_IJLi4EEEEEEESO_lEELi128ELi128ELi16ELi4ELi4ELi4ELi1ENSI_IJLi8ELi2EEEES13_NSI_IJLi2ELi1ELi4ELi4EEEENSI_IJLi8ELi1ELi32ELi1EEEENSI_IJLi0ELi3ELi1ELi2EEEES16_NSI_IJLi1ELi1ELi4ELi1EEEES16_NSI_IJLi1ELi1ELi4ELi4EEEES14_S15_S16_S16_S17_S16_S18_NSI_IJLi0ELi1ELi2ELi3ELi4ELi5EEEELi5ELi4EEEaaNS3_INS4_IJSA_SE_SG_SG_NSB_INS4_IJiNS7_IiLi128EEEEEELb0EEENSF_ISC_EEEEENS4_IJSJ_SK_SL_SZ_SP_S10_EEENS4_IJSN_SO_SP_NSI_IJLi6EEEENSI_IJLi7ELi8EEEENSI_IJLi9EEEEEEENSI_IJLi6ELi7ELi8ELi9EEEElEENS3_INS4_IJSU_SE_SG_SG_S1D_S1E_EEENS4_IJSJ_SL_SK_SZ_SP_S10_EEES1K_S1L_lEENS3_INS4_IJSU_SG_SG_NSB_INS4_IJiNS7_IiLi2EEENS7_IiLi64EEEEEELb0EEES1T_EEENS4_IJSJ_SL_SK_SZ_S10_EEENS4_IJSN_SZ_S10_NSI_IJLi5ELi6ELi7EEEENSI_IJLi8ELi9ELi10EEEEEEENSI_IJLi5ELi6ELi7ELi8ELi9ELi10EEEElEENS_31BlockToCTileMap_M00_N00_M01_N01ILi128ELi128ES12_Lb0EEELb0ELb1EEEvPKT0_S25_PT1_T2_T3_T4_T5_.kd
    .uniform_work_group_size: 1
    .uses_dynamic_stack: false
    .vgpr_count:     100
    .vgpr_spill_count: 0
    .wavefront_size: 64
  - .agpr_count:     0
    .args:
      - .address_space:  global
        .offset:         0
        .size:           8
        .value_kind:     global_buffer
      - .address_space:  global
        .offset:         8
        .size:           8
        .value_kind:     global_buffer
      - .address_space:  global
        .offset:         16
        .size:           8
        .value_kind:     global_buffer
      - .offset:         24
        .size:           64
        .value_kind:     by_value
      - .offset:         88
        .size:           64
        .value_kind:     by_value
      - .offset:         152
        .size:           64
        .value_kind:     by_value
      - .offset:         216
        .size:           112
        .value_kind:     by_value
    .group_segment_fixed_size: 32768
    .kernarg_segment_align: 8
    .kernarg_segment_size: 328
    .language:       OpenCL C
    .language_version:
      - 2
      - 0
    .max_flat_workgroup_size: 256
    .name:           _ZN2ck19kernel_gemm_dl_v1r3INS_28GridwiseGemmDl_km_kn_mn_v1r3ILi256EaiaLNS_25InMemoryDataOperationEnumE0ENS_16TensorDescriptorINS_5TupleIJNS_5EmbedINS4_IJiiEEENS4_IJNS_17integral_constantIiLi1EEEiEEELb0EEENS_7UnMergeINS4_IJiNS7_IiLi4EEEEEELb0EEENS_11PassThroughIiEEEEENS4_IJNS_8SequenceIJLi0EEEENSI_IJLi2EEEENSI_IJLi1EEEEEEENS4_IJNSI_IJLi1ELi2EEEENSI_IJLi3ELi4EEEENSI_IJLi5EEEEEEENSI_IJLi3ELi5ELi4EEEElEENS3_INS4_IJNS5_IS6_NS4_IJiS8_EEELb0EEESE_SG_EEENS4_IJSJ_SL_SK_EEESQ_SR_lEENS3_INS4_IJSU_SG_SG_EEESW_NS4_IJSN_NSI_IJLi3EEEENSI_IJLi4EEEEEEESO_lEELi128ELi128ELi16ELi4ELi4ELi4ELi1ENSI_IJLi8ELi2EEEES13_NSI_IJLi2ELi1ELi4ELi4EEEENSI_IJLi8ELi1ELi32ELi1EEEENSI_IJLi0ELi3ELi1ELi2EEEES16_NSI_IJLi1ELi1ELi4ELi1EEEES16_NSI_IJLi1ELi1ELi4ELi4EEEES14_S15_S16_S16_S17_S16_S18_NSI_IJLi0ELi1ELi2ELi3ELi4ELi5EEEELi5ELi4EEEaaNS3_INS4_IJSA_SE_SG_SG_NSB_INS4_IJiNS7_IiLi128EEEEEELb0EEENSF_ISC_EEEEENS4_IJSJ_SK_SL_SZ_SP_S10_EEENS4_IJSN_SO_SP_NSI_IJLi6EEEENSI_IJLi7ELi8EEEENSI_IJLi9EEEEEEENSI_IJLi6ELi7ELi8ELi9EEEElEENS3_INS4_IJSU_SE_SG_SG_S1D_S1E_EEENS4_IJSJ_SL_SK_SZ_SP_S10_EEES1K_S1L_lEENS3_INS4_IJSU_SG_SG_NSB_INS4_IJiNS7_IiLi2EEENS7_IiLi64EEEEEELb0EEES1T_EEENS4_IJSJ_SL_SK_SZ_S10_EEENS4_IJSN_SZ_S10_NSI_IJLi5ELi6ELi7EEEENSI_IJLi8ELi9ELi10EEEEEEENSI_IJLi5ELi6ELi7ELi8ELi9ELi10EEEElEENS_31BlockToCTileMap_M00_N00_M01_N01ILi128ELi128ES12_Lb0EEELb0ELb0EEEvPKT0_S25_PT1_T2_T3_T4_T5_
    .private_segment_fixed_size: 448
    .sgpr_count:     39
    .sgpr_spill_count: 0
    .symbol:         _ZN2ck19kernel_gemm_dl_v1r3INS_28GridwiseGemmDl_km_kn_mn_v1r3ILi256EaiaLNS_25InMemoryDataOperationEnumE0ENS_16TensorDescriptorINS_5TupleIJNS_5EmbedINS4_IJiiEEENS4_IJNS_17integral_constantIiLi1EEEiEEELb0EEENS_7UnMergeINS4_IJiNS7_IiLi4EEEEEELb0EEENS_11PassThroughIiEEEEENS4_IJNS_8SequenceIJLi0EEEENSI_IJLi2EEEENSI_IJLi1EEEEEEENS4_IJNSI_IJLi1ELi2EEEENSI_IJLi3ELi4EEEENSI_IJLi5EEEEEEENSI_IJLi3ELi5ELi4EEEElEENS3_INS4_IJNS5_IS6_NS4_IJiS8_EEELb0EEESE_SG_EEENS4_IJSJ_SL_SK_EEESQ_SR_lEENS3_INS4_IJSU_SG_SG_EEESW_NS4_IJSN_NSI_IJLi3EEEENSI_IJLi4EEEEEEESO_lEELi128ELi128ELi16ELi4ELi4ELi4ELi1ENSI_IJLi8ELi2EEEES13_NSI_IJLi2ELi1ELi4ELi4EEEENSI_IJLi8ELi1ELi32ELi1EEEENSI_IJLi0ELi3ELi1ELi2EEEES16_NSI_IJLi1ELi1ELi4ELi1EEEES16_NSI_IJLi1ELi1ELi4ELi4EEEES14_S15_S16_S16_S17_S16_S18_NSI_IJLi0ELi1ELi2ELi3ELi4ELi5EEEELi5ELi4EEEaaNS3_INS4_IJSA_SE_SG_SG_NSB_INS4_IJiNS7_IiLi128EEEEEELb0EEENSF_ISC_EEEEENS4_IJSJ_SK_SL_SZ_SP_S10_EEENS4_IJSN_SO_SP_NSI_IJLi6EEEENSI_IJLi7ELi8EEEENSI_IJLi9EEEEEEENSI_IJLi6ELi7ELi8ELi9EEEElEENS3_INS4_IJSU_SE_SG_SG_S1D_S1E_EEENS4_IJSJ_SL_SK_SZ_SP_S10_EEES1K_S1L_lEENS3_INS4_IJSU_SG_SG_NSB_INS4_IJiNS7_IiLi2EEENS7_IiLi64EEEEEELb0EEES1T_EEENS4_IJSJ_SL_SK_SZ_S10_EEENS4_IJSN_SZ_S10_NSI_IJLi5ELi6ELi7EEEENSI_IJLi8ELi9ELi10EEEEEEENSI_IJLi5ELi6ELi7ELi8ELi9ELi10EEEElEENS_31BlockToCTileMap_M00_N00_M01_N01ILi128ELi128ES12_Lb0EEELb0ELb0EEEvPKT0_S25_PT1_T2_T3_T4_T5_.kd
    .uniform_work_group_size: 1
    .uses_dynamic_stack: false
    .vgpr_count:     86
    .vgpr_spill_count: 0
    .wavefront_size: 64
  - .agpr_count:     0
    .args:
      - .actual_access:  read_only
        .address_space:  global
        .offset:         0
        .size:           8
        .value_kind:     global_buffer
      - .actual_access:  read_only
        .address_space:  global
        .offset:         8
        .size:           8
        .value_kind:     global_buffer
      - .actual_access:  write_only
        .address_space:  global
        .offset:         16
        .size:           8
        .value_kind:     global_buffer
      - .offset:         24
        .size:           4
        .value_kind:     by_value
      - .offset:         28
        .size:           4
        .value_kind:     by_value
      - .offset:         32
        .size:           4
        .value_kind:     by_value
      - .offset:         36
        .size:           1
        .value_kind:     by_value
      - .offset:         37
        .size:           1
        .value_kind:     by_value
      - .offset:         38
        .size:           1
        .value_kind:     by_value
      - .offset:         40
        .size:           4
        .value_kind:     hidden_block_count_x
      - .offset:         44
        .size:           4
        .value_kind:     hidden_block_count_y
      - .offset:         48
        .size:           4
        .value_kind:     hidden_block_count_z
      - .offset:         52
        .size:           2
        .value_kind:     hidden_group_size_x
      - .offset:         54
        .size:           2
        .value_kind:     hidden_group_size_y
      - .offset:         56
        .size:           2
        .value_kind:     hidden_group_size_z
      - .offset:         58
        .size:           2
        .value_kind:     hidden_remainder_x
      - .offset:         60
        .size:           2
        .value_kind:     hidden_remainder_y
      - .offset:         62
        .size:           2
        .value_kind:     hidden_remainder_z
      - .offset:         80
        .size:           8
        .value_kind:     hidden_global_offset_x
      - .offset:         88
        .size:           8
        .value_kind:     hidden_global_offset_y
      - .offset:         96
        .size:           8
        .value_kind:     hidden_global_offset_z
      - .offset:         104
        .size:           2
        .value_kind:     hidden_grid_dims
    .group_segment_fixed_size: 0
    .kernarg_segment_align: 8
    .kernarg_segment_size: 296
    .language:       OpenCL C
    .language_version:
      - 2
      - 0
    .max_flat_workgroup_size: 256
    .name:           _ZN2ck17naive_gemm_kernelINS_13tensor_layout4gemm11ColumnMajorENS2_8RowMajorES4_aaaiNS_16tensor_operation12element_wise11PassThroughES7_S7_aaEEvPKT2_PKT3_PT4_iiiT6_T7_T8_
    .private_segment_fixed_size: 0
    .sgpr_count:     24
    .sgpr_spill_count: 0
    .symbol:         _ZN2ck17naive_gemm_kernelINS_13tensor_layout4gemm11ColumnMajorENS2_8RowMajorES4_aaaiNS_16tensor_operation12element_wise11PassThroughES7_S7_aaEEvPKT2_PKT3_PT4_iiiT6_T7_T8_.kd
    .uniform_work_group_size: 1
    .uses_dynamic_stack: false
    .vgpr_count:     12
    .vgpr_spill_count: 0
    .wavefront_size: 64
amdhsa.target:   amdgcn-amd-amdhsa--gfx942
amdhsa.version:
  - 1
  - 2
...

	.end_amdgpu_metadata
